;; amdgpu-corpus repo=ROCm/rocFFT kind=compiled arch=gfx950 opt=O3
	.text
	.amdgcn_target "amdgcn-amd-amdhsa--gfx950"
	.amdhsa_code_object_version 6
	.protected	bluestein_single_back_len960_dim1_sp_op_CI_CI ; -- Begin function bluestein_single_back_len960_dim1_sp_op_CI_CI
	.globl	bluestein_single_back_len960_dim1_sp_op_CI_CI
	.p2align	8
	.type	bluestein_single_back_len960_dim1_sp_op_CI_CI,@function
bluestein_single_back_len960_dim1_sp_op_CI_CI: ; @bluestein_single_back_len960_dim1_sp_op_CI_CI
; %bb.0:
	s_load_dwordx4 s[8:11], s[0:1], 0x28
	v_mul_u32_u24_e32 v1, 0x19a, v0
	v_add_u32_sdwa v50, s2, v1 dst_sel:DWORD dst_unused:UNUSED_PAD src0_sel:DWORD src1_sel:WORD_1
	v_mov_b32_e32 v51, 0
	s_waitcnt lgkmcnt(0)
	v_cmp_gt_u64_e32 vcc, s[8:9], v[50:51]
	s_and_saveexec_b64 s[2:3], vcc
	s_cbranch_execz .LBB0_27
; %bb.1:
	s_load_dwordx2 s[16:17], s[0:1], 0x0
	s_load_dwordx2 s[18:19], s[0:1], 0x38
	s_movk_i32 s2, 0xa0
	v_mul_lo_u16_sdwa v1, v1, s2 dst_sel:DWORD dst_unused:UNUSED_PAD src0_sel:WORD_1 src1_sel:DWORD
	v_sub_u16_e32 v51, v0, v1
	v_cmp_lt_u16_e64 s[2:3], 59, v51
	v_cmp_gt_u16_e64 s[8:9], 60, v51
	v_lshlrev_b32_e32 v48, 3, v51
	s_and_saveexec_b64 s[12:13], s[8:9]
	s_cbranch_execz .LBB0_3
; %bb.2:
	s_load_dwordx2 s[4:5], s[0:1], 0x18
	v_mov_b32_e32 v0, s10
	v_mov_b32_e32 v1, s11
	;; [unrolled: 1-line block ×4, first 2 shown]
	s_waitcnt lgkmcnt(0)
	s_load_dwordx4 s[4:7], s[4:5], 0x0
	v_lshl_add_u64 v[26:27], s[16:17], 0, v[48:49]
	s_waitcnt lgkmcnt(0)
	v_mad_u64_u32 v[2:3], s[10:11], s6, v50, 0
	v_mad_u64_u32 v[4:5], s[10:11], s4, v51, 0
	v_mov_b32_e32 v6, v3
	v_mov_b32_e32 v8, v5
	v_mad_u64_u32 v[6:7], s[6:7], s7, v50, v[6:7]
	v_mov_b32_e32 v3, v6
	v_mad_u64_u32 v[6:7], s[6:7], s5, v51, v[8:9]
	v_mov_b32_e32 v5, v6
	v_lshl_add_u64 v[0:1], v[2:3], 3, v[0:1]
	v_lshl_add_u64 v[4:5], v[4:5], 3, v[0:1]
	v_mad_u64_u32 v[8:9], s[6:7], s4, v68, v[4:5]
	s_mulk_i32 s5, 0x1e0
	v_add_u32_e32 v9, s5, v9
	v_mad_u64_u32 v[10:11], s[6:7], s4, v68, v[8:9]
	v_add_u32_e32 v11, s5, v11
	v_mad_u64_u32 v[12:13], s[6:7], s4, v68, v[10:11]
	v_add_u32_e32 v13, s5, v13
	global_load_dwordx2 v[0:1], v[4:5], off
	global_load_dwordx2 v[2:3], v48, s[16:17]
	s_nop 0
	global_load_dwordx2 v[4:5], v[8:9], off
	global_load_dwordx2 v[6:7], v[10:11], off
	global_load_dwordx2 v[14:15], v48, s[16:17] offset:480
	s_nop 0
	global_load_dwordx2 v[10:11], v48, s[16:17] offset:960
	global_load_dwordx2 v[8:9], v48, s[16:17] offset:1440
	;; [unrolled: 1-line block ×7, first 2 shown]
	global_load_dwordx2 v[28:29], v[12:13], off
	v_mad_u64_u32 v[12:13], s[6:7], s4, v68, v[12:13]
	v_add_u32_e32 v13, s5, v13
	global_load_dwordx2 v[30:31], v[12:13], off
	v_mad_u64_u32 v[12:13], s[6:7], s4, v68, v[12:13]
	v_add_u32_e32 v13, s5, v13
	global_load_dwordx2 v[32:33], v[12:13], off
	v_mad_u64_u32 v[12:13], s[6:7], s4, v68, v[12:13]
	v_add_u32_e32 v13, s5, v13
	global_load_dwordx2 v[34:35], v[12:13], off
	v_mad_u64_u32 v[12:13], s[6:7], s4, v68, v[12:13]
	v_add_u32_e32 v13, s5, v13
	global_load_dwordx2 v[36:37], v[12:13], off
	v_mad_u64_u32 v[12:13], s[6:7], s4, v68, v[12:13]
	v_add_u32_e32 v13, s5, v13
	s_movk_i32 s10, 0x1000
	global_load_dwordx2 v[38:39], v[12:13], off
	v_mad_u64_u32 v[12:13], s[6:7], s4, v68, v[12:13]
	v_add_co_u32_e32 v26, vcc, s10, v26
	v_add_u32_e32 v13, s5, v13
	s_nop 0
	v_addc_co_u32_e32 v27, vcc, 0, v27, vcc
	global_load_dwordx2 v[40:41], v[12:13], off
	global_load_dwordx2 v[42:43], v[26:27], off offset:224
	v_mad_u64_u32 v[12:13], s[6:7], s4, v68, v[12:13]
	v_add_u32_e32 v13, s5, v13
	global_load_dwordx2 v[44:45], v[12:13], off
	global_load_dwordx2 v[46:47], v[26:27], off offset:704
	v_mad_u64_u32 v[12:13], s[6:7], s4, v68, v[12:13]
	v_add_u32_e32 v13, s5, v13
	global_load_dwordx2 v[52:53], v[12:13], off
	global_load_dwordx2 v[54:55], v[26:27], off offset:1184
	v_mad_u64_u32 v[12:13], s[6:7], s4, v68, v[12:13]
	v_add_u32_e32 v13, s5, v13
	global_load_dwordx2 v[56:57], v[12:13], off
	global_load_dwordx2 v[58:59], v[26:27], off offset:1664
	v_mad_u64_u32 v[12:13], s[6:7], s4, v68, v[12:13]
	v_add_u32_e32 v13, s5, v13
	global_load_dwordx2 v[60:61], v[12:13], off
	global_load_dwordx2 v[62:63], v[26:27], off offset:2144
	global_load_dwordx2 v[64:65], v[26:27], off offset:2624
	global_load_dwordx2 v[66:67], v[26:27], off offset:3104
	v_mad_u64_u32 v[12:13], s[6:7], s4, v68, v[12:13]
	v_add_u32_e32 v13, s5, v13
	global_load_dwordx2 v[26:27], v[12:13], off
	v_mad_u64_u32 v[12:13], s[6:7], s4, v68, v[12:13]
	v_add_u32_e32 v13, s5, v13
	global_load_dwordx2 v[12:13], v[12:13], off
	s_waitcnt vmcnt(30)
	v_mul_f32_e32 v68, v1, v3
	v_mul_f32_e32 v49, v0, v3
	v_fmac_f32_e32 v68, v0, v2
	s_waitcnt vmcnt(27)
	v_mul_f32_e32 v0, v4, v15
	v_fma_f32 v69, v1, v2, -v49
	v_fma_f32 v1, v5, v14, -v0
	v_mul_f32_e32 v0, v5, v15
	v_fmac_f32_e32 v0, v4, v14
	s_waitcnt vmcnt(19)
	v_mul_f32_e32 v2, v28, v9
	ds_write2_b64 v48, v[68:69], v[0:1] offset1:60
	v_mul_f32_e32 v0, v7, v11
	v_mul_f32_e32 v1, v6, v11
	v_fma_f32 v3, v29, v8, -v2
	v_mul_f32_e32 v2, v29, v9
	v_fmac_f32_e32 v0, v6, v10
	v_fma_f32 v1, v7, v10, -v1
	v_fmac_f32_e32 v2, v28, v8
	ds_write2_b64 v48, v[0:1], v[2:3] offset0:120 offset1:180
	s_waitcnt vmcnt(18)
	v_mul_f32_e32 v0, v31, v17
	v_mul_f32_e32 v1, v30, v17
	s_waitcnt vmcnt(17)
	v_mul_f32_e32 v2, v33, v19
	v_mul_f32_e32 v3, v32, v19
	v_fmac_f32_e32 v0, v30, v16
	v_fma_f32 v1, v31, v16, -v1
	v_fmac_f32_e32 v2, v32, v18
	v_fma_f32 v3, v33, v18, -v3
	v_add_u32_e32 v4, 0x400, v48
	ds_write2_b64 v4, v[0:1], v[2:3] offset0:112 offset1:172
	s_waitcnt vmcnt(16)
	v_mul_f32_e32 v0, v35, v21
	v_mul_f32_e32 v1, v34, v21
	s_waitcnt vmcnt(15)
	v_mul_f32_e32 v2, v37, v23
	v_mul_f32_e32 v3, v36, v23
	v_fmac_f32_e32 v0, v34, v20
	v_fma_f32 v1, v35, v20, -v1
	v_fmac_f32_e32 v2, v36, v22
	v_fma_f32 v3, v37, v22, -v3
	v_add_u32_e32 v4, 0x800, v48
	;; [unrolled: 12-line block ×6, first 2 shown]
	ds_write2_b64 v4, v[0:1], v[2:3] offset0:72 offset1:132
.LBB0_3:
	s_or_b64 exec, exec, s[12:13]
	s_waitcnt lgkmcnt(0)
	s_barrier
	s_waitcnt lgkmcnt(0)
                                        ; implicit-def: $vgpr18
                                        ; implicit-def: $vgpr20
                                        ; implicit-def: $vgpr0
                                        ; implicit-def: $vgpr8
                                        ; implicit-def: $vgpr22
                                        ; implicit-def: $vgpr24
                                        ; implicit-def: $vgpr4
                                        ; implicit-def: $vgpr12
                                        ; implicit-def: $vgpr16
                                        ; implicit-def: $vgpr26
                                        ; implicit-def: $vgpr28
                                        ; implicit-def: $vgpr30
	s_and_saveexec_b64 s[4:5], s[8:9]
	s_cbranch_execz .LBB0_5
; %bb.4:
	v_add_u32_e32 v8, 0x400, v48
	ds_read2_b64 v[0:3], v48 offset1:60
	ds_read2_b64 v[4:7], v48 offset0:120 offset1:180
	ds_read2_b64 v[26:29], v8 offset0:112 offset1:172
	v_add_u32_e32 v8, 0x800, v48
	v_add_u32_e32 v16, 0x1400, v48
	ds_read2_b64 v[30:33], v8 offset0:104 offset1:164
	v_add_u32_e32 v8, 0xc00, v48
	v_add_u32_e32 v12, 0x1000, v48
	ds_read2_b64 v[34:37], v16 offset0:80 offset1:140
	v_add_u32_e32 v16, 0x1800, v48
	ds_read2_b64 v[8:11], v8 offset0:96 offset1:156
	ds_read2_b64 v[12:15], v12 offset0:88 offset1:148
	;; [unrolled: 1-line block ×3, first 2 shown]
	s_waitcnt lgkmcnt(7)
	v_mov_b32_e32 v18, v0
	s_waitcnt lgkmcnt(5)
	v_mov_b32_e32 v19, v26
	;; [unrolled: 2-line block ×3, first 2 shown]
	v_mov_b32_e32 v21, v34
	v_mov_b32_e32 v0, v27
	;; [unrolled: 1-line block ×5, first 2 shown]
	s_waitcnt lgkmcnt(1)
	v_mov_b32_e32 v24, v12
	s_waitcnt lgkmcnt(0)
	v_mov_b32_e32 v25, v38
	v_mov_b32_e32 v4, v31
	;; [unrolled: 1-line block ×15, first 2 shown]
.LBB0_5:
	s_or_b64 exec, exec, s[4:5]
	v_pk_add_f32 v[8:9], v[0:1], v[8:9] neg_lo:[0,1] neg_hi:[0,1]
	v_pk_add_f32 v[20:21], v[18:19], v[20:21] neg_lo:[0,1] neg_hi:[0,1]
	v_fma_f32 v34, v1, 2.0, -v9
	v_fma_f32 v35, v0, 2.0, -v8
	v_pk_add_f32 v[0:1], v[22:23], v[24:25] neg_lo:[0,1] neg_hi:[0,1]
	v_fma_f32 v32, v18, 2.0, -v20
	v_fma_f32 v36, v19, 2.0, -v21
	;; [unrolled: 3-line block ×3, first 2 shown]
	v_pk_add_f32 v[18:19], v[28:29], v[30:31] neg_lo:[0,1] neg_hi:[0,1]
	v_pk_add_f32 v[14:15], v[6:7], v[14:15] neg_lo:[0,1] neg_hi:[0,1]
	v_fma_f32 v33, v5, 2.0, -v13
	v_fma_f32 v37, v4, 2.0, -v12
	v_pk_add_f32 v[4:5], v[16:17], v[26:27] neg_lo:[0,1] neg_hi:[0,1]
	v_fma_f32 v25, v28, 2.0, -v18
	v_fma_f32 v7, v7, 2.0, -v15
	;; [unrolled: 1-line block ×4, first 2 shown]
	v_sub_f32_e32 v28, v22, v23
	v_fma_f32 v30, v22, 2.0, -v28
	v_sub_f32_e32 v39, v25, v26
	v_sub_f32_e32 v31, v7, v27
	v_pk_add_f32 v[22:23], v[20:21], v[8:9] neg_lo:[0,1] neg_hi:[0,1]
	v_pk_add_f32 v[26:27], v[20:21], v[8:9]
	v_pk_add_f32 v[10:11], v[2:3], v[10:11] neg_lo:[0,1] neg_hi:[0,1]
	v_sub_f32_e32 v6, v34, v35
	v_add_f32_e32 v29, v34, v34
	v_mov_b32_e32 v23, v27
	v_pk_add_f32 v[26:27], v[0:1], v[12:13] neg_lo:[0,1] neg_hi:[0,1]
	v_pk_add_f32 v[34:35], v[0:1], v[12:13]
	v_pk_add_f32 v[40:41], v[4:5], v[10:11]
	v_mov_b32_e32 v27, v35
	v_pk_add_f32 v[34:35], v[4:5], v[10:11] neg_lo:[0,1] neg_hi:[0,1]
	v_mov_b32_e32 v21, v9
	v_mov_b32_e32 v1, v13
	;; [unrolled: 1-line block ×3, first 2 shown]
	v_pk_add_f32 v[40:41], v[18:19], v[14:15] neg_lo:[0,1] neg_hi:[0,1]
	v_pk_add_f32 v[42:43], v[18:19], v[14:15]
	s_mov_b32 s4, 0x3f3504f3
	v_pk_fma_f32 v[12:13], v[20:21], 2.0, v[22:23] op_sel_hi:[1,0,1] neg_lo:[0,0,1] neg_hi:[0,0,1]
	v_pk_fma_f32 v[0:1], v[0:1], 2.0, v[26:27] op_sel_hi:[1,0,1] neg_lo:[0,0,1] neg_hi:[0,0,1]
	v_mov_b32_e32 v41, v43
	v_mov_b32_e32 v19, v15
	v_pk_mul_f32 v[20:21], v[0:1], s[4:5] op_sel_hi:[1,0]
	v_pk_fma_f32 v[0:1], v[0:1], s[4:5], v[12:13] op_sel_hi:[1,0,1] neg_lo:[1,0,0] neg_hi:[1,0,0]
	v_pk_mul_f32 v[52:53], v[40:41], s[4:5] op_sel_hi:[1,0]
	v_pk_fma_f32 v[54:55], v[40:41], s[4:5], v[34:35] op_sel_hi:[1,0,1]
	v_mov_b32_e32 v8, v4
	v_mov_b32_e32 v9, v11
	v_pk_fma_f32 v[18:19], v[18:19], 2.0, v[40:41] op_sel_hi:[1,0,1] neg_lo:[0,0,1] neg_hi:[0,0,1]
	v_pk_add_f32 v[40:41], v[0:1], v[20:21] op_sel:[0,1] op_sel_hi:[1,0]
	v_pk_add_f32 v[60:61], v[0:1], v[20:21] op_sel:[0,1] op_sel_hi:[1,0] neg_lo:[0,1] neg_hi:[0,1]
	v_pk_fma_f32 v[14:15], v[8:9], 2.0, v[34:35] op_sel_hi:[1,0,1] neg_lo:[0,0,1] neg_hi:[0,0,1]
	v_mov_b32_e32 v61, v41
	v_pk_fma_f32 v[0:1], v[12:13], 2.0, v[60:61] op_sel_hi:[1,0,1] neg_lo:[0,0,1] neg_hi:[0,0,1]
	v_pk_mul_f32 v[12:13], v[18:19], s[4:5] op_sel_hi:[1,0]
	v_pk_fma_f32 v[18:19], v[18:19], s[4:5], v[14:15] op_sel_hi:[1,0,1] neg_lo:[1,0,0] neg_hi:[1,0,0]
	v_pk_mul_f32 v[42:43], v[26:27], s[4:5] op_sel_hi:[1,0]
	v_pk_fma_f32 v[44:45], v[26:27], s[4:5], v[22:23] op_sel_hi:[1,0,1]
	v_pk_add_f32 v[62:63], v[18:19], v[12:13] op_sel:[0,1] op_sel_hi:[1,0]
	v_pk_add_f32 v[12:13], v[18:19], v[12:13] op_sel:[0,1] op_sel_hi:[1,0] neg_lo:[0,1] neg_hi:[0,1]
	v_pk_add_f32 v[46:47], v[44:45], v[42:43] op_sel:[0,1] op_sel_hi:[1,0] neg_lo:[0,1] neg_hi:[0,1]
	v_pk_add_f32 v[42:43], v[44:45], v[42:43] op_sel:[0,1] op_sel_hi:[1,0]
	v_pk_add_f32 v[58:59], v[54:55], v[52:53] op_sel:[0,1] op_sel_hi:[1,0] neg_lo:[0,1] neg_hi:[0,1]
	v_pk_add_f32 v[52:53], v[54:55], v[52:53] op_sel:[0,1] op_sel_hi:[1,0]
	v_mov_b32_e32 v13, v63
	v_mov_b32_e32 v47, v43
	;; [unrolled: 1-line block ×3, first 2 shown]
	v_pk_fma_f32 v[14:15], v[14:15], 2.0, v[12:13] op_sel_hi:[1,0,1] neg_lo:[0,0,1] neg_hi:[0,0,1]
	s_mov_b32 s12, 0x3f6c835e
	s_mov_b32 s6, 0x3ec3ef15
	v_pk_fma_f32 v[44:45], v[22:23], 2.0, v[46:47] op_sel_hi:[1,0,1] neg_lo:[0,0,1] neg_hi:[0,0,1]
	v_pk_fma_f32 v[54:55], v[34:35], 2.0, v[58:59] op_sel_hi:[1,0,1] neg_lo:[0,0,1] neg_hi:[0,0,1]
	v_pk_fma_f32 v[18:19], v[14:15], s[12:13], v[0:1] op_sel_hi:[1,0,1] neg_lo:[1,0,0] neg_hi:[1,0,0]
	v_pk_mul_f32 v[14:15], v[14:15], s[6:7] op_sel_hi:[1,0]
	v_add_f32_e32 v24, v32, v32
	v_pk_add_f32 v[20:21], v[18:19], v[14:15] op_sel:[0,1] op_sel_hi:[1,0]
	v_pk_add_f32 v[22:23], v[18:19], v[14:15] op_sel:[0,1] op_sel_hi:[1,0] neg_lo:[0,1] neg_hi:[0,1]
	v_pk_fma_f32 v[14:15], v[54:55], s[6:7], v[44:45] op_sel_hi:[1,0,1] neg_lo:[1,0,0] neg_hi:[1,0,0]
	v_pk_mul_f32 v[18:19], v[54:55], s[12:13] op_sel_hi:[1,0]
	v_mov_b32_e32 v23, v21
	v_pk_add_f32 v[20:21], v[14:15], v[18:19] op_sel:[0,1] op_sel_hi:[1,0]
	v_pk_add_f32 v[26:27], v[14:15], v[18:19] op_sel:[0,1] op_sel_hi:[1,0] neg_lo:[0,1] neg_hi:[0,1]
	v_mov_b32_e32 v14, v16
	v_mov_b32_e32 v15, v3
	;; [unrolled: 1-line block ×6, first 2 shown]
	v_pk_fma_f32 v[8:9], v[14:15], 2.0, v[8:9] op_sel_hi:[1,0,1] neg_lo:[0,0,1] neg_hi:[0,0,1]
	v_pk_fma_f32 v[2:3], v[2:3], 2.0, v[16:17] op_sel_hi:[1,0,1] neg_lo:[0,0,1] neg_hi:[0,0,1]
	;; [unrolled: 1-line block ×3, first 2 shown]
	v_pk_add_f32 v[0:1], v[32:33], v[36:37] neg_lo:[0,1] neg_hi:[0,1]
	v_pk_add_f32 v[2:3], v[8:9], v[2:3] neg_lo:[0,1] neg_hi:[0,1]
	v_fma_f32 v49, v25, 2.0, -v39
	v_mov_b32_e32 v25, v0
	v_sub_f32_e32 v10, v2, v31
	v_fma_f32 v4, v7, 2.0, -v31
	v_pk_add_f32 v[14:15], v[24:25], v[0:1] neg_lo:[0,1] neg_hi:[0,1]
	v_mul_f32_e32 v31, 0x3f3504f3, v10
	v_fma_f32 v7, v33, 2.0, -v1
	v_pk_add_f32 v[36:37], v[14:15], v[30:31] neg_lo:[0,1] neg_hi:[0,1]
	v_pk_add_f32 v[16:17], v[14:15], v[30:31]
	v_add_f32_e32 v38, v9, v9
	v_mov_b32_e32 v27, v21
	v_mov_b32_e32 v37, v17
	v_pk_add_f32 v[16:17], v[28:29], v[6:7] op_sel_hi:[1,0]
	v_pk_add_f32 v[20:21], v[28:29], v[6:7] op_sel_hi:[1,0] neg_lo:[0,1] neg_hi:[0,1]
	s_mov_b32 s5, s4
	v_pk_add_f32 v[28:29], v[38:39], v[2:3] op_sel:[0,1]
	v_mov_b32_e32 v5, 0x3f3504f3
	v_mov_b32_e32 v11, v29
	v_pk_mul_f32 v[28:29], v[28:29], s[4:5]
	v_mov_b32_e32 v1, v6
	v_pk_add_f32 v[24:25], v[38:39], v[2:3] op_sel:[0,1] neg_lo:[0,1] neg_hi:[0,1]
	v_mov_b32_e32 v6, v29
	v_fma_f32 v8, v8, 2.0, -v2
	v_pk_add_f32 v[4:5], v[24:25], v[4:5] neg_lo:[0,1] neg_hi:[0,1]
	v_pk_add_f32 v[6:7], v[20:21], v[6:7] neg_lo:[0,1] neg_hi:[0,1]
	v_pk_fma_f32 v[2:3], v[2:3], 2.0, v[10:11] op_sel_hi:[1,0,1] neg_lo:[0,0,1] neg_hi:[0,0,1]
	v_mov_b32_e32 v10, v15
	v_mov_b32_e32 v15, v21
	v_sub_f32_e32 v38, v8, v49
	v_mov_b32_e32 v11, v16
	v_mov_b32_e32 v6, v36
	;; [unrolled: 1-line block ×4, first 2 shown]
	v_pk_fma_f32 v[0:1], v[0:1], 2.0, v[10:11] op_sel_hi:[1,0,1] neg_lo:[0,0,1] neg_hi:[0,0,1]
	v_pk_fma_f32 v[14:15], v[14:15], 2.0, v[6:7] op_sel_hi:[1,0,1] neg_lo:[0,0,1] neg_hi:[0,0,1]
	;; [unrolled: 1-line block ×3, first 2 shown]
	v_mov_b32_e32 v5, v29
	v_pk_add_f32 v[20:21], v[14:15], v[8:9] neg_lo:[0,1] neg_hi:[0,1]
	v_pk_mul_f32 v[8:9], v[2:3], s[4:5] op_sel_hi:[1,0]
	v_pk_fma_f32 v[2:3], v[2:3], s[4:5], v[0:1] op_sel_hi:[1,0,1] neg_lo:[1,0,0] neg_hi:[1,0,0]
	v_mov_b32_e32 v28, v29
	v_mov_b32_e32 v29, v4
	v_pk_add_f32 v[24:25], v[2:3], v[8:9] op_sel:[0,1] op_sel_hi:[1,0] neg_lo:[0,1] neg_hi:[0,1]
	v_pk_add_f32 v[2:3], v[2:3], v[8:9] op_sel:[0,1] op_sel_hi:[1,0]
	v_pk_fma_f32 v[34:35], v[44:45], 2.0, v[26:27] op_sel_hi:[1,0,1] neg_lo:[0,0,1] neg_hi:[0,0,1]
	v_mov_b32_e32 v13, v58
	s_mov_b32 s7, s12
	v_pk_add_f32 v[44:45], v[16:17], v[28:29]
	v_mov_b32_e32 v25, v3
	v_mov_b32_e32 v2, v60
	;; [unrolled: 1-line block ×3, first 2 shown]
	s_load_dwordx2 s[10:11], s[0:1], 0x8
	v_mov_b32_e32 v62, v53
	s_mov_b32 s13, s6
	v_mov_b32_e32 v45, v7
	v_pk_fma_f32 v[32:33], v[0:1], 2.0, v[24:25] op_sel_hi:[1,0,1] neg_lo:[0,0,1] neg_hi:[0,0,1]
	v_mov_b32_e32 v0, v31
	v_mov_b32_e32 v1, v38
	v_pk_fma_f32 v[2:3], v[12:13], s[6:7], v[2:3]
	v_mov_b32_e32 v52, v63
	v_mov_b32_e32 v40, v43
	v_pk_add_f32 v[28:29], v[36:37], v[4:5] neg_lo:[0,1] neg_hi:[0,1]
	v_pk_add_f32 v[56:57], v[0:1], v[44:45]
	v_pk_fma_f32 v[30:31], v[52:53], s[12:13], v[2:3] neg_lo:[1,0,0] neg_hi:[1,0,0]
	v_pk_fma_f32 v[2:3], v[62:63], s[12:13], v[40:41]
	v_mov_b32_e32 v59, v12
	v_mov_b32_e32 v0, v28
	;; [unrolled: 1-line block ×3, first 2 shown]
	v_pk_fma_f32 v[58:59], v[58:59], s[6:7], v[2:3]
	v_pk_fma_f32 v[36:37], v[6:7], 2.0, v[0:1] op_sel_hi:[1,0,1] neg_lo:[0,0,1] neg_hi:[0,0,1]
	v_mov_b32_e32 v2, v30
	v_mov_b32_e32 v3, v59
	;; [unrolled: 1-line block ×6, first 2 shown]
	v_pk_fma_f32 v[16:17], v[14:15], 2.0, v[20:21] op_sel_hi:[1,0,1] neg_lo:[0,0,1] neg_hi:[0,0,1]
	v_pk_fma_f32 v[38:39], v[60:61], 2.0, v[2:3] op_sel_hi:[1,0,1] neg_lo:[0,0,1] neg_hi:[0,0,1]
	;; [unrolled: 1-line block ×4, first 2 shown]
	v_lshlrev_b16_e32 v79, 4, v51
	s_waitcnt lgkmcnt(0)
	s_barrier
	s_and_saveexec_b64 s[4:5], s[8:9]
	s_cbranch_execz .LBB0_7
; %bb.6:
	v_lshlrev_b32_e32 v8, 3, v79
	ds_write_b128 v8, v[16:19]
	ds_write_b128 v8, v[32:35] offset:16
	ds_write_b128 v8, v[36:39] offset:32
	;; [unrolled: 1-line block ×7, first 2 shown]
.LBB0_7:
	s_or_b64 exec, exec, s[4:5]
	s_load_dwordx2 s[0:1], s[0:1], 0x20
	s_movk_i32 s4, 0x5f
	v_cmp_lt_u16_e64 s[6:7], s4, v51
	s_movk_i32 s4, 0x60
	v_cmp_gt_u16_e64 s[4:5], s4, v51
	s_waitcnt lgkmcnt(0)
	s_barrier
	s_and_saveexec_b64 s[12:13], s[4:5]
	s_cbranch_execz .LBB0_9
; %bb.8:
	v_add_u32_e32 v0, 0x400, v48
	ds_read2_b64 v[32:35], v0 offset0:64 offset1:160
	v_add_u32_e32 v0, 0x800, v48
	ds_read2_b64 v[36:39], v0 offset0:128 offset1:224
	;; [unrolled: 2-line block ×3, first 2 shown]
	v_add_u32_e32 v0, 0x1800, v48
	ds_read2_b64 v[16:19], v48 offset1:96
	ds_read2_b64 v[20:23], v0 offset1:96
.LBB0_9:
	s_or_b64 exec, exec, s[12:13]
	v_and_b32_e32 v78, 15, v51
	s_movk_i32 s12, 0x48
	v_mov_b64_e32 v[0:1], s[10:11]
	v_mad_u64_u32 v[44:45], s[12:13], v78, s12, v[0:1]
	global_load_dwordx4 v[0:3], v[44:45], off
	global_load_dwordx4 v[12:15], v[44:45], off offset:16
	global_load_dwordx4 v[8:11], v[44:45], off offset:32
	;; [unrolled: 1-line block ×3, first 2 shown]
	global_load_dwordx2 v[52:53], v[44:45], off offset:64
	s_waitcnt lgkmcnt(0)
	v_mov_b32_e32 v44, v23
	s_mov_b32 s12, 0x3f737871
	s_mov_b32 s14, 0x3f167918
	;; [unrolled: 1-line block ×6, first 2 shown]
	s_barrier
	s_waitcnt vmcnt(4)
	v_pk_mul_f32 v[54:55], v[32:33], v[2:3] op_sel:[1,0]
	s_waitcnt vmcnt(3)
	v_pk_mul_f32 v[60:61], v[34:35], v[12:13] op_sel:[1,0]
	v_pk_mul_f32 v[62:63], v[36:37], v[14:15] op_sel:[1,0]
	s_waitcnt vmcnt(2)
	v_pk_mul_f32 v[64:65], v[38:39], v[8:9] op_sel:[1,0]
	;; [unrolled: 3-line block ×3, first 2 shown]
	v_pk_mul_f32 v[70:71], v[20:21], v[6:7] op_sel:[1,0]
	s_waitcnt vmcnt(0)
	v_pk_mul_f32 v[72:73], v[44:45], v[52:53] op_sel_hi:[0,1]
	v_pk_mul_f32 v[74:75], v[18:19], v[0:1] op_sel:[1,0]
	v_pk_fma_f32 v[46:47], v[32:33], v[2:3], v[54:55] op_sel:[0,0,1] op_sel_hi:[1,1,0] neg_lo:[0,0,1] neg_hi:[0,0,1]
	v_pk_fma_f32 v[32:33], v[32:33], v[2:3], v[54:55] op_sel:[0,0,1] op_sel_hi:[0,1,0]
	v_pk_fma_f32 v[44:45], v[34:35], v[12:13], v[60:61] op_sel:[0,0,1] op_sel_hi:[1,1,0] neg_lo:[0,0,1] neg_hi:[0,0,1]
	v_pk_fma_f32 v[34:35], v[34:35], v[12:13], v[60:61] op_sel:[0,0,1] op_sel_hi:[0,1,0]
	;; [unrolled: 2-line block ×9, first 2 shown]
	v_mov_b32_e32 v47, v33
	v_mov_b32_e32 v45, v35
	;; [unrolled: 1-line block ×9, first 2 shown]
	v_pk_add_f32 v[18:19], v[54:55], v[64:65]
	v_pk_add_f32 v[42:43], v[46:47], v[54:55] neg_lo:[0,1] neg_hi:[0,1]
	v_pk_add_f32 v[60:61], v[40:41], v[64:65] neg_lo:[0,1] neg_hi:[0,1]
	;; [unrolled: 1-line block ×6, first 2 shown]
	v_pk_add_f32 v[72:73], v[46:47], v[40:41]
	v_pk_add_f32 v[74:75], v[36:37], v[38:39]
	v_pk_add_f32 v[32:33], v[46:47], v[40:41] neg_lo:[0,1] neg_hi:[0,1]
	v_pk_add_f32 v[34:35], v[54:55], v[64:65] neg_lo:[0,1] neg_hi:[0,1]
	;; [unrolled: 1-line block ×3, first 2 shown]
	v_pk_add_f32 v[60:61], v[42:43], v[60:61]
	v_pk_fma_f32 v[18:19], v[18:19], 0.5, v[16:17] op_sel_hi:[1,0,1] neg_lo:[1,0,0] neg_hi:[1,0,0]
	v_pk_add_f32 v[62:63], v[62:63], v[66:67]
	v_pk_add_f32 v[42:43], v[68:69], v[70:71]
	v_pk_fma_f32 v[66:67], v[72:73], 0.5, v[16:17] op_sel_hi:[1,0,1] neg_lo:[1,0,0] neg_hi:[1,0,0]
	v_pk_fma_f32 v[68:69], v[74:75], 0.5, v[22:23] op_sel_hi:[1,0,1] neg_lo:[1,0,0] neg_hi:[1,0,0]
	v_pk_add_f32 v[80:81], v[36:37], v[38:39] neg_lo:[0,1] neg_hi:[0,1]
	v_pk_fma_f32 v[70:71], v[32:33], s[12:13], v[18:19] op_sel:[1,0,0] op_sel_hi:[0,0,1] neg_lo:[1,0,0] neg_hi:[1,0,0]
	v_pk_fma_f32 v[18:19], v[32:33], s[12:13], v[18:19] op_sel:[1,0,0] op_sel_hi:[0,0,1]
	v_pk_fma_f32 v[72:73], v[34:35], s[12:13], v[66:67] op_sel:[1,0,0] op_sel_hi:[0,0,1]
	v_pk_fma_f32 v[74:75], v[34:35], s[12:13], v[66:67] op_sel:[1,0,0] op_sel_hi:[0,0,1] neg_lo:[1,0,0] neg_hi:[1,0,0]
	v_pk_fma_f32 v[66:67], v[76:77], s[12:13], v[68:69] op_sel:[1,0,0] op_sel_hi:[0,0,1]
	v_pk_fma_f32 v[68:69], v[76:77], s[12:13], v[68:69] op_sel:[1,0,0] op_sel_hi:[0,0,1] neg_lo:[1,0,0] neg_hi:[1,0,0]
	v_pk_fma_f32 v[70:71], v[34:35], s[14:15], v[70:71] op_sel:[1,0,0] op_sel_hi:[0,0,1] neg_lo:[1,0,0] neg_hi:[1,0,0]
	v_pk_fma_f32 v[18:19], v[34:35], s[14:15], v[18:19] op_sel:[1,0,0] op_sel_hi:[0,0,1]
	v_pk_fma_f32 v[34:35], v[80:81], s[14:15], v[68:69] op_sel:[1,0,0] op_sel_hi:[0,0,1] neg_lo:[1,0,0] neg_hi:[1,0,0]
	v_pk_fma_f32 v[66:67], v[80:81], s[14:15], v[66:67] op_sel:[1,0,0] op_sel_hi:[0,0,1]
	v_mov_b32_e32 v68, v66
	v_mov_b32_e32 v69, v35
	v_mov_b32_e32 v35, v67
	v_mov_b32_e32 v66, v18
	v_mov_b32_e32 v67, v71
	v_mov_b32_e32 v71, v19
	v_pk_fma_f32 v[68:69], v[42:43], s[20:21], v[68:69] op_sel_hi:[1,0,1]
	v_pk_fma_f32 v[34:35], v[42:43], s[20:21], v[34:35] op_sel_hi:[1,0,1]
	;; [unrolled: 1-line block ×4, first 2 shown]
	v_pk_mul_f32 v[60:61], v[68:69], s[14:15] op_sel_hi:[1,0]
	v_pk_add_f32 v[70:71], v[38:39], v[20:21] neg_lo:[0,1] neg_hi:[0,1]
	v_pk_fma_f32 v[66:67], v[68:69], s[22:23], v[60:61] op_sel:[0,0,1] op_sel_hi:[1,0,0]
	v_pk_fma_f32 v[60:61], v[68:69], s[22:23], v[60:61] op_sel:[0,0,1] op_sel_hi:[1,0,0] neg_lo:[0,0,1] neg_hi:[0,0,1]
	v_pk_add_f32 v[68:69], v[36:37], v[44:45] neg_lo:[0,1] neg_hi:[0,1]
	v_mov_b32_e32 v67, v61
	v_pk_add_f32 v[68:69], v[68:69], v[70:71]
	v_pk_add_f32 v[70:71], v[44:45], v[20:21]
	v_pk_fma_f32 v[60:61], v[32:33], s[14:15], v[72:73] op_sel:[1,0,0] op_sel_hi:[0,0,1] neg_lo:[1,0,0] neg_hi:[1,0,0]
	v_pk_fma_f32 v[70:71], v[70:71], 0.5, v[22:23] op_sel_hi:[1,0,1] neg_lo:[1,0,0] neg_hi:[1,0,0]
	v_pk_fma_f32 v[32:33], v[32:33], s[14:15], v[74:75] op_sel:[1,0,0] op_sel_hi:[0,0,1]
	v_pk_fma_f32 v[72:73], v[80:81], s[12:13], v[70:71] op_sel:[1,0,0] op_sel_hi:[0,0,1] neg_lo:[1,0,0] neg_hi:[1,0,0]
	v_pk_fma_f32 v[70:71], v[80:81], s[12:13], v[70:71] op_sel:[1,0,0] op_sel_hi:[0,0,1]
	v_pk_fma_f32 v[70:71], v[76:77], s[14:15], v[70:71] op_sel:[1,0,0] op_sel_hi:[0,0,1] neg_lo:[1,0,0] neg_hi:[1,0,0]
	v_pk_fma_f32 v[72:73], v[76:77], s[14:15], v[72:73] op_sel:[1,0,0] op_sel_hi:[0,0,1]
	v_mov_b32_e32 v74, v72
	v_mov_b32_e32 v75, v71
	;; [unrolled: 1-line block ×3, first 2 shown]
	v_pk_fma_f32 v[72:73], v[68:69], s[20:21], v[74:75] op_sel_hi:[1,0,1]
	v_pk_fma_f32 v[74:75], v[68:69], s[20:21], v[70:71] op_sel_hi:[1,0,1]
	v_pk_mul_f32 v[70:71], v[72:73], s[12:13] op_sel_hi:[1,0]
	s_mov_b32 s14, 0xbf737871
	v_pk_fma_f32 v[68:69], v[72:73], s[20:21], v[70:71] op_sel:[0,0,1] op_sel_hi:[1,0,0]
	v_pk_fma_f32 v[70:71], v[72:73], s[20:21], v[70:71] op_sel:[0,0,1] op_sel_hi:[1,0,0] neg_lo:[0,0,1] neg_hi:[0,0,1]
	s_mov_b32 s15, s12
	v_mov_b32_e32 v69, v71
	v_mov_b32_e32 v70, v32
	;; [unrolled: 1-line block ×4, first 2 shown]
	v_pk_mul_f32 v[32:33], v[74:75], s[14:15]
	v_pk_fma_f32 v[70:71], v[62:63], s[20:21], v[70:71] op_sel_hi:[1,0,1]
	v_pk_fma_f32 v[74:75], v[74:75], s[20:21], v[32:33] op_sel:[0,0,1] op_sel_hi:[1,0,0] neg_lo:[1,0,0] neg_hi:[1,0,0]
	v_pk_mul_f32 v[32:33], v[34:35], s[24:25]
	v_pk_fma_f32 v[72:73], v[62:63], s[20:21], v[60:61] op_sel_hi:[1,0,1]
	v_pk_fma_f32 v[76:77], v[34:35], s[22:23], v[32:33] op_sel:[0,0,1] op_sel_hi:[1,0,0] neg_lo:[1,0,0] neg_hi:[1,0,0]
	v_pk_add_f32 v[32:33], v[72:73], v[74:75] neg_lo:[0,1] neg_hi:[0,1]
	v_pk_add_f32 v[34:35], v[18:19], v[76:77] neg_lo:[0,1] neg_hi:[0,1]
	v_lshrrev_b32_e32 v80, 4, v51
	v_pk_add_f32 v[62:63], v[42:43], v[66:67] neg_lo:[0,1] neg_hi:[0,1]
	v_pk_add_f32 v[60:61], v[70:71], v[68:69] neg_lo:[0,1] neg_hi:[0,1]
	s_and_saveexec_b64 s[12:13], s[4:5]
	s_cbranch_execz .LBB0_11
; %bb.10:
	v_pk_add_f32 v[16:17], v[16:17], v[46:47]
	v_pk_add_f32 v[22:23], v[22:23], v[44:45]
	;; [unrolled: 1-line block ×4, first 2 shown]
	v_mul_u32_u24_e32 v49, 0xa0, v80
	v_pk_add_f32 v[16:17], v[16:17], v[64:65]
	v_pk_add_f32 v[22:23], v[22:23], v[38:39]
	v_or_b32_e32 v49, v49, v78
	v_pk_add_f32 v[16:17], v[16:17], v[40:41]
	v_pk_add_f32 v[20:21], v[22:23], v[20:21]
	v_lshlrev_b32_e32 v49, 3, v49
	v_pk_add_f32 v[22:23], v[16:17], v[20:21]
	v_pk_add_f32 v[36:37], v[42:43], v[66:67]
	ds_write2_b64 v49, v[22:23], v[36:37] offset1:16
	v_pk_add_f32 v[22:23], v[70:71], v[68:69]
	v_pk_add_f32 v[36:37], v[72:73], v[74:75]
	v_pk_add_f32 v[18:19], v[18:19], v[76:77]
	v_pk_add_f32 v[16:17], v[16:17], v[20:21] neg_lo:[0,1] neg_hi:[0,1]
	ds_write2_b64 v49, v[22:23], v[36:37] offset0:32 offset1:48
	ds_write2_b64 v49, v[18:19], v[16:17] offset0:64 offset1:80
	;; [unrolled: 1-line block ×4, first 2 shown]
.LBB0_11:
	s_or_b64 exec, exec, s[12:13]
	s_load_dwordx4 s[12:15], s[0:1], 0x0
	v_mad_u64_u32 v[36:37], s[0:1], v51, 40, s[10:11]
	s_waitcnt lgkmcnt(0)
	s_barrier
	global_load_dwordx4 v[20:23], v[36:37], off offset:1152
	global_load_dwordx4 v[16:19], v[36:37], off offset:1168
	global_load_dwordx2 v[54:55], v[36:37], off offset:1184
	v_add_u32_e32 v65, 0x800, v48
	ds_read2_b64 v[36:39], v48 offset1:160
	v_add_u32_e32 v64, 0x1400, v48
	ds_read2_b64 v[40:43], v65 offset0:64 offset1:224
	ds_read2_b64 v[44:47], v64 offset1:160
	s_mov_b32 s0, 0x3f5db3d7
	s_mov_b32 s10, 0.5
	s_mov_b32 s11, s0
	s_waitcnt vmcnt(2)
	v_mov_b32_e32 v66, v23
	s_waitcnt vmcnt(1)
	v_mov_b32_e32 v68, v19
	s_waitcnt lgkmcnt(2)
	v_pk_mul_f32 v[70:71], v[38:39], v[20:21] op_sel_hi:[1,0]
	v_mov_b32_e32 v72, v21
	s_waitcnt lgkmcnt(1)
	v_pk_mul_f32 v[74:75], v[42:43], v[16:17] op_sel_hi:[1,0]
	v_mov_b32_e32 v76, v17
	s_waitcnt vmcnt(0) lgkmcnt(0)
	v_pk_mul_f32 v[82:83], v[46:47], v[54:55] op_sel_hi:[1,0]
	v_mov_b32_e32 v84, v55
	v_pk_mul_f32 v[66:67], v[40:41], v[66:67] op_sel_hi:[1,0]
	v_pk_mul_f32 v[68:69], v[44:45], v[68:69] op_sel_hi:[1,0]
	v_pk_fma_f32 v[72:73], v[38:39], v[72:73], v[70:71] op_sel:[0,0,1] op_sel_hi:[1,1,0]
	v_pk_fma_f32 v[38:39], v[38:39], v[20:21], v[70:71] op_sel:[0,1,1] op_sel_hi:[1,1,0] neg_lo:[1,0,0] neg_hi:[1,0,0]
	v_pk_fma_f32 v[70:71], v[42:43], v[76:77], v[74:75] op_sel:[0,0,1] op_sel_hi:[1,1,0]
	v_pk_fma_f32 v[42:43], v[42:43], v[16:17], v[74:75] op_sel:[0,1,1] op_sel_hi:[1,1,0] neg_lo:[1,0,0] neg_hi:[1,0,0]
	;; [unrolled: 2-line block ×3, first 2 shown]
	v_pk_fma_f32 v[76:77], v[40:41], v[22:23], v[66:67] op_sel:[0,0,1] op_sel_hi:[1,1,0] neg_lo:[0,0,1] neg_hi:[0,0,1]
	v_pk_fma_f32 v[40:41], v[40:41], v[22:23], v[66:67] op_sel:[0,0,1] op_sel_hi:[1,0,0]
	v_pk_fma_f32 v[66:67], v[44:45], v[18:19], v[68:69] op_sel:[0,0,1] op_sel_hi:[1,1,0] neg_lo:[0,0,1] neg_hi:[0,0,1]
	v_pk_fma_f32 v[44:45], v[44:45], v[18:19], v[68:69] op_sel:[0,0,1] op_sel_hi:[1,0,0]
	v_mov_b32_e32 v71, v43
	v_mov_b32_e32 v75, v47
	;; [unrolled: 1-line block ×5, first 2 shown]
	v_pk_add_f32 v[38:39], v[70:71], v[74:75]
	v_pk_add_f32 v[40:41], v[70:71], v[74:75] neg_lo:[0,1] neg_hi:[0,1]
	v_pk_add_f32 v[44:45], v[76:77], v[66:67]
	v_pk_add_f32 v[46:47], v[76:77], v[66:67] neg_lo:[0,1] neg_hi:[0,1]
	v_pk_add_f32 v[68:69], v[36:37], v[76:77]
	v_pk_fma_f32 v[38:39], v[38:39], 0.5, v[72:73] op_sel_hi:[1,0,1] neg_lo:[1,0,0] neg_hi:[1,0,0]
	v_pk_mul_f32 v[40:41], v[40:41], s[0:1] op_sel_hi:[1,0]
	v_pk_add_f32 v[42:43], v[72:73], v[70:71]
	v_pk_fma_f32 v[36:37], v[44:45], 0.5, v[36:37] op_sel_hi:[1,0,1] neg_lo:[1,0,0] neg_hi:[1,0,0]
	v_pk_mul_f32 v[44:45], v[46:47], s[0:1] op_sel_hi:[1,0]
	v_pk_add_f32 v[46:47], v[68:69], v[66:67]
	v_pk_add_f32 v[66:67], v[40:41], v[38:39] op_sel:[1,0] op_sel_hi:[0,1]
	v_pk_add_f32 v[68:69], v[38:39], v[40:41] op_sel:[0,1] op_sel_hi:[1,0] neg_lo:[0,1] neg_hi:[0,1]
	v_pk_add_f32 v[42:43], v[42:43], v[74:75]
	v_pk_add_f32 v[70:71], v[36:37], v[44:45] op_sel:[0,1] op_sel_hi:[1,0]
	v_pk_add_f32 v[44:45], v[36:37], v[44:45] op_sel:[0,1] op_sel_hi:[1,0] neg_lo:[0,1] neg_hi:[0,1]
	v_mov_b32_e32 v36, v66
	v_mov_b32_e32 v37, v69
	s_mov_b32 s1, 0xbf5db3d7
	v_pk_add_f32 v[40:41], v[46:47], v[42:43] op_sel:[0,1] op_sel_hi:[1,0]
	v_pk_add_f32 v[38:39], v[46:47], v[42:43] op_sel:[0,1] op_sel_hi:[1,0] neg_lo:[0,1] neg_hi:[0,1]
	v_pk_mul_f32 v[42:43], v[36:37], 0.5 op_sel_hi:[1,0]
	v_pk_mul_f32 v[66:67], v[66:67], s[10:11] op_sel:[1,0]
	v_pk_fma_f32 v[42:43], v[36:37], s[0:1], v[42:43] op_sel:[0,0,1] op_sel_hi:[1,1,0] neg_lo:[0,0,1] neg_hi:[0,0,1]
	s_mov_b32 s1, s10
	v_mov_b32_e32 v72, v70
	v_mov_b32_e32 v73, v45
	;; [unrolled: 1-line block ×3, first 2 shown]
	v_pk_fma_f32 v[70:71], v[68:69], s[0:1], v[66:67]
	v_pk_fma_f32 v[66:67], v[68:69], s[0:1], v[66:67] op_sel_hi:[0,1,1] neg_lo:[0,0,1] neg_hi:[0,0,1]
	v_mov_b32_e32 v71, v67
	v_pk_add_f32 v[36:37], v[44:45], v[42:43]
	v_pk_add_f32 v[46:47], v[44:45], v[42:43] neg_lo:[0,1] neg_hi:[0,1]
	v_pk_add_f32 v[42:43], v[72:73], v[70:71]
	v_pk_add_f32 v[44:45], v[72:73], v[70:71] neg_lo:[0,1] neg_hi:[0,1]
	ds_write2_b64 v65, v[36:37], v[38:39] offset0:64 offset1:224
	ds_write2_b64 v48, v[40:41], v[42:43] offset1:160
	ds_write2_b64 v64, v[44:45], v[46:47] offset1:160
	s_waitcnt lgkmcnt(0)
	s_barrier
	s_and_saveexec_b64 s[0:1], s[8:9]
	s_cbranch_execz .LBB0_13
; %bb.12:
	v_mov_b32_e32 v49, 0
	v_lshl_add_u64 v[66:67], s[16:17], 0, v[48:49]
	s_mov_b64 s[10:11], 0x1e00
	v_lshl_add_u64 v[68:69], v[66:67], 0, s[10:11]
	global_load_dwordx2 v[72:73], v[68:69], off offset:480
	v_add_co_u32_e32 v70, vcc, 0x1000, v66
	s_movk_i32 s10, 0x2000
	s_nop 0
	v_addc_co_u32_e32 v71, vcc, 0, v67, vcc
	global_load_dwordx2 v[74:75], v[70:71], off offset:3584
	global_load_dwordx2 v[82:83], v[68:69], off offset:960
	global_load_dwordx2 v[84:85], v[68:69], off offset:1440
	global_load_dwordx2 v[86:87], v[68:69], off offset:1920
	global_load_dwordx2 v[88:89], v[68:69], off offset:2400
	global_load_dwordx2 v[90:91], v[68:69], off offset:2880
	global_load_dwordx2 v[92:93], v[68:69], off offset:3360
	v_add_co_u32_e32 v70, vcc, s10, v66
	global_load_dwordx2 v[94:95], v[68:69], off offset:3840
	s_nop 0
	v_addc_co_u32_e32 v71, vcc, 0, v67, vcc
	global_load_dwordx2 v[96:97], v[70:71], off offset:3808
	s_movk_i32 s10, 0x3000
	v_add_co_u32_e32 v70, vcc, s10, v66
	v_add_u32_e32 v81, 0xc00, v48
	s_nop 0
	v_addc_co_u32_e32 v71, vcc, 0, v67, vcc
	global_load_dwordx2 v[98:99], v[70:71], off offset:192
	global_load_dwordx2 v[100:101], v[70:71], off offset:672
	;; [unrolled: 1-line block ×6, first 2 shown]
	ds_read2_b64 v[66:69], v48 offset1:60
	s_waitcnt vmcnt(15) lgkmcnt(0)
	v_mul_f32_e32 v49, v69, v73
	v_mul_f32_e32 v71, v68, v73
	v_fma_f32 v70, v68, v72, -v49
	v_fmac_f32_e32 v71, v69, v72
	s_waitcnt vmcnt(14)
	v_mul_f32_e32 v49, v67, v75
	v_mul_f32_e32 v69, v66, v75
	v_fma_f32 v68, v66, v74, -v49
	v_fmac_f32_e32 v69, v67, v74
	ds_write2_b64 v48, v[68:69], v[70:71] offset1:60
	ds_read2_b64 v[66:69], v48 offset0:120 offset1:180
	v_add_u32_e32 v49, 0x400, v48
	ds_read2_b64 v[70:73], v49 offset0:112 offset1:172
	ds_read2_b64 v[74:77], v65 offset0:104 offset1:164
	s_waitcnt vmcnt(13) lgkmcnt(2)
	v_mul_f32_e32 v110, v67, v83
	v_mul_f32_e32 v111, v66, v83
	s_waitcnt vmcnt(12)
	v_mul_f32_e32 v112, v69, v85
	v_mul_f32_e32 v83, v68, v85
	s_waitcnt vmcnt(11) lgkmcnt(1)
	v_mul_f32_e32 v113, v71, v87
	v_mul_f32_e32 v85, v70, v87
	s_waitcnt vmcnt(10)
	v_mul_f32_e32 v114, v73, v89
	v_mul_f32_e32 v87, v72, v89
	;; [unrolled: 6-line block ×3, first 2 shown]
	v_fma_f32 v110, v66, v82, -v110
	v_fmac_f32_e32 v111, v67, v82
	v_fma_f32 v82, v68, v84, -v112
	v_fmac_f32_e32 v83, v69, v84
	;; [unrolled: 2-line block ×6, first 2 shown]
	ds_write2_b64 v48, v[110:111], v[82:83] offset0:120 offset1:180
	ds_write2_b64 v49, v[84:85], v[86:87] offset0:112 offset1:172
	;; [unrolled: 1-line block ×3, first 2 shown]
	ds_read2_b64 v[66:69], v81 offset0:96 offset1:156
	v_add_u32_e32 v49, 0x1000, v48
	s_waitcnt vmcnt(7) lgkmcnt(0)
	v_mul_f32_e32 v65, v67, v95
	v_mul_f32_e32 v71, v66, v95
	s_waitcnt vmcnt(6)
	v_mul_f32_e32 v72, v69, v97
	v_mul_f32_e32 v73, v68, v97
	v_fma_f32 v70, v66, v94, -v65
	v_fmac_f32_e32 v71, v67, v94
	v_fma_f32 v72, v68, v96, -v72
	v_fmac_f32_e32 v73, v69, v96
	ds_write2_b64 v81, v[70:71], v[72:73] offset0:96 offset1:156
	ds_read2_b64 v[66:69], v49 offset0:88 offset1:148
	v_add_u32_e32 v81, 0x1800, v48
	ds_read2_b64 v[70:73], v64 offset0:80 offset1:140
	ds_read2_b64 v[74:77], v81 offset0:72 offset1:132
	s_waitcnt vmcnt(5) lgkmcnt(2)
	v_mul_f32_e32 v65, v67, v99
	v_mul_f32_e32 v83, v66, v99
	s_waitcnt vmcnt(4)
	v_mul_f32_e32 v84, v69, v101
	v_mul_f32_e32 v85, v68, v101
	s_waitcnt vmcnt(3) lgkmcnt(1)
	v_mul_f32_e32 v86, v71, v103
	v_mul_f32_e32 v87, v70, v103
	s_waitcnt vmcnt(2)
	v_mul_f32_e32 v88, v73, v105
	v_mul_f32_e32 v89, v72, v105
	v_fma_f32 v82, v66, v98, -v65
	v_fmac_f32_e32 v83, v67, v98
	v_fma_f32 v84, v68, v100, -v84
	v_fmac_f32_e32 v85, v69, v100
	s_waitcnt vmcnt(1) lgkmcnt(0)
	v_mul_f32_e32 v90, v75, v107
	v_fma_f32 v86, v70, v102, -v86
	v_fmac_f32_e32 v87, v71, v102
	v_fma_f32 v88, v72, v104, -v88
	v_fmac_f32_e32 v89, v73, v104
	ds_write2_b64 v49, v[82:83], v[84:85] offset0:88 offset1:148
	ds_write2_b64 v64, v[86:87], v[88:89] offset0:80 offset1:140
	v_mul_f32_e32 v65, v74, v107
	s_waitcnt vmcnt(0)
	v_mul_f32_e32 v49, v77, v109
	v_mul_f32_e32 v67, v76, v109
	v_fma_f32 v64, v74, v106, -v90
	v_fmac_f32_e32 v65, v75, v106
	v_fma_f32 v66, v76, v108, -v49
	v_fmac_f32_e32 v67, v77, v108
	ds_write2_b64 v81, v[64:65], v[66:67] offset0:72 offset1:132
.LBB0_13:
	s_or_b64 exec, exec, s[0:1]
	s_waitcnt lgkmcnt(0)
	s_barrier
	s_waitcnt lgkmcnt(0)
                                        ; implicit-def: $vgpr66_vgpr67
                                        ; implicit-def: $vgpr64_vgpr65
	s_and_saveexec_b64 s[0:1], s[2:3]
	s_xor_b64 s[0:1], exec, s[0:1]
; %bb.14:
	v_mov_b32_e32 v64, v63
	v_mov_b32_e32 v65, v45
	;; [unrolled: 1-line block ×6, first 2 shown]
; %bb.15:
	s_andn2_saveexec_b64 s[0:1], s[0:1]
	s_cbranch_execz .LBB0_17
; %bb.16:
	v_add_u32_e32 v24, 0x400, v48
	ds_read2_b64 v[44:47], v24 offset0:112 offset1:172
	v_add_u32_e32 v24, 0x800, v48
	ds_read2_b64 v[36:39], v48 offset0:120 offset1:180
	ds_read2_b64 v[58:61], v24 offset0:104 offset1:164
	ds_read2_b64 v[40:43], v48 offset1:60
	v_add_u32_e32 v24, 0xc00, v48
	ds_read2_b64 v[32:35], v24 offset0:96 offset1:156
	v_add_u32_e32 v24, 0x1000, v48
	v_add_u32_e32 v25, 0x1400, v48
	;; [unrolled: 1-line block ×3, first 2 shown]
	ds_read2_b64 v[66:69], v26 offset0:72 offset1:132
	ds_read2_b64 v[28:31], v25 offset0:80 offset1:140
	;; [unrolled: 1-line block ×3, first 2 shown]
	s_waitcnt lgkmcnt(5)
	v_mov_b32_e32 v64, v59
	v_mov_b32_e32 v65, v45
	s_waitcnt lgkmcnt(2)
	v_mov_b32_e32 v56, v67
	s_waitcnt lgkmcnt(1)
	v_mov_b32_e32 v57, v29
	v_mov_b32_e32 v45, v58
	;; [unrolled: 1-line block ×9, first 2 shown]
.LBB0_17:
	s_or_b64 exec, exec, s[0:1]
	v_pk_add_f32 v[60:61], v[40:41], v[32:33] neg_lo:[0,1] neg_hi:[0,1]
	v_pk_add_f32 v[62:63], v[44:45], v[28:29] neg_lo:[0,1] neg_hi:[0,1]
	;; [unrolled: 1-line block ×3, first 2 shown]
	s_waitcnt lgkmcnt(0)
	v_pk_add_f32 v[24:25], v[36:37], v[24:25] neg_lo:[0,1] neg_hi:[0,1]
	v_pk_add_f32 v[72:73], v[38:39], v[26:27] neg_lo:[0,1] neg_hi:[0,1]
	v_mov_b32_e32 v26, v57
	v_mov_b32_e32 v28, v60
	;; [unrolled: 1-line block ×3, first 2 shown]
	v_pk_add_f32 v[58:59], v[66:67], v[58:59] neg_lo:[0,1] neg_hi:[0,1]
	v_pk_add_f32 v[74:75], v[26:27], v[60:61]
	v_pk_add_f32 v[70:71], v[60:61], v[28:29] neg_lo:[0,1] neg_hi:[0,1]
	v_pk_add_f32 v[76:77], v[56:57], v[24:25]
	v_pk_add_f32 v[28:29], v[24:25], v[62:63] neg_lo:[0,1] neg_hi:[0,1]
	v_pk_add_f32 v[34:35], v[42:43], v[34:35] neg_lo:[0,1] neg_hi:[0,1]
	;; [unrolled: 1-line block ×3, first 2 shown]
	v_mov_b32_e32 v75, v71
	v_mov_b32_e32 v77, v29
	;; [unrolled: 1-line block ×3, first 2 shown]
	v_pk_fma_f32 v[26:27], v[60:61], 2.0, v[74:75] op_sel_hi:[1,0,1] neg_lo:[0,0,1] neg_hi:[0,0,1]
	v_pk_fma_f32 v[28:29], v[24:25], 2.0, v[76:77] op_sel_hi:[1,0,1] neg_lo:[0,0,1] neg_hi:[0,0,1]
	v_mov_b32_e32 v32, v34
	v_mov_b32_e32 v33, v68
	v_pk_add_f32 v[82:83], v[30:31], v[34:35]
	v_pk_add_f32 v[88:89], v[58:59], v[72:73]
	v_pk_add_f32 v[30:31], v[72:73], v[68:69] neg_lo:[0,1] neg_hi:[0,1]
	s_mov_b32 s10, 0x3f3504f3
	v_pk_add_f32 v[84:85], v[34:35], v[32:33] neg_lo:[0,1] neg_hi:[0,1]
	v_mov_b32_e32 v89, v31
	v_pk_mul_f32 v[30:31], v[28:29], s[10:11] op_sel_hi:[1,0]
	v_pk_fma_f32 v[28:29], v[28:29], s[10:11], v[26:27] op_sel_hi:[1,0,1] neg_lo:[1,0,0] neg_hi:[1,0,0]
	v_mov_b32_e32 v83, v85
	v_pk_add_f32 v[32:33], v[28:29], v[30:31] op_sel:[0,1] op_sel_hi:[1,0]
	v_pk_add_f32 v[28:29], v[28:29], v[30:31] op_sel:[0,1] op_sel_hi:[1,0] neg_lo:[0,1] neg_hi:[0,1]
	v_pk_fma_f32 v[86:87], v[34:35], 2.0, v[82:83] op_sel_hi:[1,0,1] neg_lo:[0,0,1] neg_hi:[0,0,1]
	v_pk_fma_f32 v[90:91], v[72:73], 2.0, v[88:89] op_sel_hi:[1,0,1] neg_lo:[0,0,1] neg_hi:[0,0,1]
	v_mov_b32_e32 v33, v29
	v_pk_fma_f32 v[30:31], v[26:27], 2.0, v[32:33] op_sel_hi:[1,0,1] neg_lo:[0,0,1] neg_hi:[0,0,1]
	v_pk_mul_f32 v[26:27], v[90:91], s[10:11] op_sel_hi:[1,0]
	v_pk_fma_f32 v[90:91], v[90:91], s[10:11], v[86:87] op_sel_hi:[1,0,1] neg_lo:[1,0,0] neg_hi:[1,0,0]
	s_mov_b32 s0, 0x3f6c835e
	v_pk_add_f32 v[92:93], v[90:91], v[26:27] op_sel:[0,1] op_sel_hi:[1,0]
	v_pk_add_f32 v[90:91], v[90:91], v[26:27] op_sel:[0,1] op_sel_hi:[1,0] neg_lo:[0,1] neg_hi:[0,1]
	s_mov_b32 s20, 0x3ec3ef15
	v_mov_b32_e32 v93, v91
	v_pk_fma_f32 v[26:27], v[86:87], 2.0, v[92:93] op_sel_hi:[1,0,1] neg_lo:[0,0,1] neg_hi:[0,0,1]
	v_fmamk_f32 v28, v91, 0x3ec3ef15, v29
	v_pk_fma_f32 v[86:87], v[26:27], s[0:1], v[30:31] op_sel_hi:[1,0,1] neg_lo:[1,0,0] neg_hi:[1,0,0]
	v_pk_mul_f32 v[94:95], v[26:27], s[20:21] op_sel_hi:[1,0]
	s_mov_b32 s1, s10
	v_pk_add_f32 v[26:27], v[86:87], v[94:95] op_sel:[0,1] op_sel_hi:[1,0]
	v_pk_add_f32 v[86:87], v[86:87], v[94:95] op_sel:[0,1] op_sel_hi:[1,0] neg_lo:[0,1] neg_hi:[0,1]
	s_mov_b32 s21, s10
	v_mov_b32_e32 v27, v87
	v_mov_b32_e32 v86, v40
	;; [unrolled: 1-line block ×7, first 2 shown]
	v_pk_fma_f32 v[36:37], v[86:87], 2.0, v[36:37] op_sel_hi:[1,0,1] neg_lo:[0,0,1] neg_hi:[0,0,1]
	v_pk_fma_f32 v[24:25], v[40:41], 2.0, v[60:61] op_sel_hi:[1,0,1] neg_lo:[0,0,1] neg_hi:[0,0,1]
	;; [unrolled: 1-line block ×4, first 2 shown]
	v_mov_b32_e32 v56, v42
	v_mov_b32_e32 v57, v38
	;; [unrolled: 1-line block ×6, first 2 shown]
	v_pk_fma_f32 v[34:35], v[42:43], 2.0, v[34:35] op_sel_hi:[1,0,1] neg_lo:[0,0,1] neg_hi:[0,0,1]
	v_pk_fma_f32 v[42:43], v[46:47], 2.0, v[68:69] op_sel_hi:[1,0,1] neg_lo:[0,0,1] neg_hi:[0,0,1]
	;; [unrolled: 1-line block ×3, first 2 shown]
	v_pk_add_f32 v[58:59], v[36:37], v[40:41] neg_lo:[0,1] neg_hi:[0,1]
	v_pk_add_f32 v[44:45], v[24:25], v[44:45] neg_lo:[0,1] neg_hi:[0,1]
	v_pk_fma_f32 v[38:39], v[56:57], 2.0, v[38:39] op_sel_hi:[1,0,1] neg_lo:[0,0,1] neg_hi:[0,0,1]
	v_mov_b32_e32 v56, v36
	v_mov_b32_e32 v57, v25
	v_pk_add_f32 v[62:63], v[34:35], v[46:47] neg_lo:[0,1] neg_hi:[0,1]
	v_mov_b32_e32 v46, v58
	v_mov_b32_e32 v47, v45
	;; [unrolled: 1-line block ×4, first 2 shown]
	v_pk_add_f32 v[42:43], v[38:39], v[42:43] neg_lo:[0,1] neg_hi:[0,1]
	v_pk_fma_f32 v[46:47], v[56:57], 2.0, v[46:47] op_sel_hi:[1,0,1] neg_lo:[0,0,1] neg_hi:[0,0,1]
	v_mov_b32_e32 v56, v59
	v_mov_b32_e32 v57, v44
	;; [unrolled: 1-line block ×4, first 2 shown]
	v_pk_fma_f32 v[40:41], v[40:41], 2.0, v[56:57] op_sel_hi:[1,0,1] neg_lo:[0,0,1] neg_hi:[0,0,1]
	v_mov_b32_e32 v56, v42
	v_mov_b32_e32 v57, v63
	;; [unrolled: 1-line block ×4, first 2 shown]
	v_pk_add_f32 v[36:37], v[44:45], v[58:59]
	v_pk_add_f32 v[34:35], v[44:45], v[58:59] neg_lo:[0,1] neg_hi:[0,1]
	v_pk_add_f32 v[64:65], v[62:63], v[42:43]
	v_pk_add_f32 v[72:73], v[62:63], v[42:43] neg_lo:[0,1] neg_hi:[0,1]
	v_pk_fma_f32 v[24:25], v[24:25], 2.0, v[56:57] op_sel_hi:[1,0,1] neg_lo:[0,0,1] neg_hi:[0,0,1]
	v_mov_b32_e32 v56, v43
	v_mov_b32_e32 v57, v62
	v_mov_b32_e32 v37, v35
	v_mov_b32_e32 v65, v73
	v_pk_fma_f32 v[56:57], v[38:39], 2.0, v[56:57] op_sel_hi:[1,0,1] neg_lo:[0,0,1] neg_hi:[0,0,1]
	v_pk_add_f32 v[38:39], v[46:47], v[40:41] neg_lo:[0,1] neg_hi:[0,1]
	v_pk_add_f32 v[40:41], v[24:25], v[56:57] neg_lo:[0,1] neg_hi:[0,1]
	v_pk_mul_f32 v[66:67], v[64:65], s[10:11] op_sel_hi:[1,0]
	v_pk_fma_f32 v[68:69], v[64:65], s[10:11], v[36:37] op_sel_hi:[1,0,1]
	v_pk_fma_f32 v[60:61], v[46:47], 2.0, v[38:39] op_sel_hi:[1,0,1] neg_lo:[0,0,1] neg_hi:[0,0,1]
	v_pk_fma_f32 v[24:25], v[24:25], 2.0, v[40:41] op_sel_hi:[1,0,1] neg_lo:[0,0,1] neg_hi:[0,0,1]
	v_pk_add_f32 v[46:47], v[38:39], v[40:41] op_sel:[0,1] op_sel_hi:[1,0]
	v_pk_add_f32 v[56:57], v[38:39], v[40:41] op_sel:[0,1] op_sel_hi:[1,0] neg_lo:[0,1] neg_hi:[0,1]
	v_pk_add_f32 v[40:41], v[68:69], v[66:67] op_sel:[0,1] op_sel_hi:[1,0]
	v_pk_add_f32 v[66:67], v[68:69], v[66:67] op_sel:[0,1] op_sel_hi:[1,0] neg_lo:[0,1] neg_hi:[0,1]
	v_pk_mul_f32 v[68:69], v[76:77], s[10:11] op_sel_hi:[1,0]
	v_pk_fma_f32 v[76:77], v[76:77], s[10:11], v[74:75] op_sel_hi:[1,0,1]
	v_mov_b32_e32 v41, v67
	v_pk_add_f32 v[66:67], v[76:77], v[68:69] op_sel:[0,1] op_sel_hi:[1,0]
	v_pk_add_f32 v[76:77], v[76:77], v[68:69] op_sel:[0,1] op_sel_hi:[1,0] neg_lo:[0,1] neg_hi:[0,1]
	v_pk_mul_f32 v[68:69], v[88:89], s[10:11] op_sel_hi:[1,0]
	v_pk_fma_f32 v[86:87], v[88:89], s[10:11], v[82:83] op_sel_hi:[1,0,1]
	v_mov_b32_e32 v44, v45
	v_pk_add_f32 v[88:89], v[86:87], v[68:69] op_sel:[0,1] op_sel_hi:[1,0]
	v_pk_add_f32 v[86:87], v[86:87], v[68:69] op_sel:[0,1] op_sel_hi:[1,0] neg_lo:[0,1] neg_hi:[0,1]
	v_mov_b32_e32 v45, v74
	v_mov_b32_e32 v34, v35
	;; [unrolled: 1-line block ×5, first 2 shown]
	v_pk_fma_f32 v[68:69], v[44:45], 2.0, v[34:35] op_sel_hi:[1,0,1] neg_lo:[0,0,1] neg_hi:[0,0,1]
	v_mov_b32_e32 v44, v85
	v_mov_b32_e32 v45, v42
	v_pk_fma_f32 v[42:43], v[82:83], 2.0, v[72:73] op_sel_hi:[1,0,1] neg_lo:[0,0,1] neg_hi:[0,0,1]
	v_mov_b32_e32 v62, v87
	v_mov_b32_e32 v63, v64
	;; [unrolled: 1-line block ×3, first 2 shown]
	v_pk_mul_f32 v[58:59], v[42:43], s[0:1]
	v_pk_fma_f32 v[44:45], v[44:45], 2.0, v[62:63] op_sel_hi:[1,0,1] neg_lo:[0,0,1] neg_hi:[0,0,1]
	v_fmamk_f32 v70, v92, 0xbf6c835e, v28
	v_mov_b32_e32 v28, v59
	v_pk_mul_f32 v[62:63], v[44:45], s[20:21]
	v_mov_b32_e32 v34, v71
	v_pk_add_f32 v[58:59], v[68:69], v[28:29] neg_lo:[0,1] neg_hi:[0,1]
	v_mov_b32_e32 v28, v63
	v_mov_b32_e32 v62, v77
	;; [unrolled: 1-line block ×3, first 2 shown]
	v_pk_fma_f32 v[34:35], v[34:35], 2.0, v[62:63] op_sel_hi:[1,0,1] neg_lo:[0,0,1] neg_hi:[0,0,1]
	v_pk_add_f32 v[58:59], v[58:59], v[28:29] neg_lo:[0,1] neg_hi:[0,1]
	v_pk_fma_f32 v[64:65], v[44:45], s[20:21], v[34:35] neg_lo:[1,0,0] neg_hi:[1,0,0]
	v_mov_b32_e32 v67, v77
	v_pk_fma_f32 v[62:63], v[42:43], s[0:1], v[64:65] neg_lo:[1,0,0] neg_hi:[1,0,0]
	v_pk_fma_f32 v[64:65], v[42:43], s[0:1], v[64:65]
	v_mov_b32_e32 v89, v87
	v_mov_b32_e32 v63, v65
	v_fmamk_f32 v59, v42, 0xbec3ef15, v69
	v_fmac_f32_e32 v59, 0x3f6c835e, v44
	v_pk_fma_f32 v[44:45], v[34:35], 2.0, v[62:63] op_sel_hi:[1,0,1] neg_lo:[0,0,1] neg_hi:[0,0,1]
	v_pk_fma_f32 v[34:35], v[88:89], s[0:1], v[66:67] op_sel_hi:[1,0,1]
	v_pk_mul_f32 v[72:73], v[88:89], s[20:21] op_sel_hi:[1,0]
	v_fmamk_f32 v49, v92, 0x3ec3ef15, v32
	v_pk_add_f32 v[42:43], v[34:35], v[72:73] op_sel:[0,1] op_sel_hi:[1,0]
	v_pk_add_f32 v[34:35], v[34:35], v[72:73] op_sel:[0,1] op_sel_hi:[1,0] neg_lo:[0,1] neg_hi:[0,1]
	v_fmac_f32_e32 v49, 0x3f6c835e, v91
	v_pk_add_f32 v[24:25], v[60:61], v[24:25] neg_lo:[0,1] neg_hi:[0,1]
	v_mov_b32_e32 v47, v57
	v_mov_b32_e32 v43, v35
	s_barrier
	s_and_saveexec_b64 s[0:1], s[2:3]
	s_xor_b64 s[0:1], exec, s[0:1]
; %bb.18:
                                        ; implicit-def: $vgpr56_vgpr57
                                        ; implicit-def: $vgpr64_vgpr65
                                        ; implicit-def: $vgpr62_vgpr63
                                        ; implicit-def: $vgpr79
; %bb.19:
	s_or_saveexec_b64 s[0:1], s[0:1]
	v_pk_fma_f32 v[30:31], v[30:31], 2.0, v[26:27] op_sel_hi:[1,0,1] neg_lo:[0,0,1] neg_hi:[0,0,1]
	v_fma_f32 v34, v32, 2.0, -v49
	v_fma_f32 v35, v29, 2.0, -v70
	v_pk_fma_f32 v[28:29], v[60:61], 2.0, v[24:25] op_sel_hi:[1,0,1] neg_lo:[0,0,1] neg_hi:[0,0,1]
	v_pk_fma_f32 v[32:33], v[38:39], 2.0, v[46:47] op_sel_hi:[1,0,1] neg_lo:[0,0,1] neg_hi:[0,0,1]
	;; [unrolled: 1-line block ×5, first 2 shown]
	s_xor_b64 exec, exec, s[0:1]
	s_cbranch_execz .LBB0_21
; %bb.20:
	v_lshlrev_b32_e32 v63, 3, v79
	v_mov_b32_e32 v66, v45
	v_mov_b32_e32 v67, v60
	;; [unrolled: 1-line block ×3, first 2 shown]
	ds_write_b128 v63, v[28:31]
	ds_write_b96 v63, v[66:68] offset:16
	ds_write2_b32 v63, v44, v32 offset0:7 offset1:8
	ds_write2_b32 v63, v33, v34 offset0:9 offset1:10
	ds_write_b128 v63, v[36:39] offset:48
	ds_write_b128 v63, v[24:27] offset:64
	v_mov_b32_e32 v64, v65
	v_mov_b32_e32 v65, v58
	;; [unrolled: 1-line block ×3, first 2 shown]
	ds_write_b96 v63, v[64:66] offset:80
	ds_write2_b32 v63, v62, v46 offset0:23 offset1:24
	ds_write2_b32 v63, v57, v49 offset0:25 offset1:26
	;; [unrolled: 1-line block ×3, first 2 shown]
	ds_write_b128 v63, v[40:43] offset:112
.LBB0_21:
	s_or_b64 exec, exec, s[0:1]
	s_waitcnt lgkmcnt(0)
	s_barrier
	s_and_saveexec_b64 s[0:1], s[6:7]
	s_xor_b64 s[0:1], exec, s[0:1]
	s_andn2_saveexec_b64 s[0:1], s[0:1]
	s_cbranch_execz .LBB0_23
; %bb.22:
	v_add_u32_e32 v24, 0x400, v48
	ds_read2_b64 v[40:43], v24 offset0:64 offset1:160
	v_add_u32_e32 v24, 0x800, v48
	ds_read2_b64 v[32:35], v24 offset0:128 offset1:224
	;; [unrolled: 2-line block ×3, first 2 shown]
	v_add_u32_e32 v24, 0x1800, v48
	ds_read2_b64 v[28:31], v48 offset1:96
	ds_read2_b64 v[24:27], v24 offset1:96
	s_waitcnt lgkmcnt(4)
	v_mov_b32_e32 v44, v43
	v_mov_b32_e32 v45, v40
	;; [unrolled: 1-line block ×4, first 2 shown]
.LBB0_23:
	s_or_b64 exec, exec, s[0:1]
	v_mov_b32_e32 v42, v22
	v_mov_b32_e32 v43, v22
	;; [unrolled: 1-line block ×15, first 2 shown]
	s_waitcnt lgkmcnt(0)
	s_barrier
	s_and_saveexec_b64 s[0:1], s[4:5]
	s_cbranch_execz .LBB0_25
; %bb.24:
	v_pk_mul_f32 v[62:63], v[2:3], v[60:61] op_sel_hi:[1,0]
	v_mov_b32_e32 v76, v27
	v_mul_u32_u24_e32 v27, 0xa0, v80
	v_pk_mul_f32 v[64:65], v[14:15], v[32:33] op_sel:[0,1]
	v_or_b32_e32 v27, v27, v78
	v_pk_fma_f32 v[78:79], v[2:3], v[44:45], v[62:63] op_sel:[0,1,1] op_sel_hi:[1,1,0]
	v_pk_fma_f32 v[2:3], v[2:3], v[44:45], v[62:63] op_sel:[0,1,1] op_sel_hi:[1,1,0] neg_lo:[1,0,0] neg_hi:[1,0,0]
	v_pk_mul_f32 v[66:67], v[6:7], v[24:25] op_sel:[0,1]
	v_mov_b32_e32 v79, v3
	v_pk_fma_f32 v[2:3], v[14:15], v[32:33], v[64:65] op_sel:[0,0,1] op_sel_hi:[1,1,0]
	v_pk_fma_f32 v[14:15], v[14:15], v[32:33], v[64:65] op_sel:[0,0,1] op_sel_hi:[1,0,0] neg_lo:[1,0,0] neg_hi:[1,0,0]
	v_pk_mul_f32 v[68:69], v[10:11], v[36:37] op_sel:[0,1]
	v_mov_b32_e32 v74, v35
	v_mov_b32_e32 v3, v15
	v_pk_fma_f32 v[14:15], v[6:7], v[24:25], v[66:67] op_sel:[0,0,1] op_sel_hi:[1,1,0]
	v_pk_fma_f32 v[6:7], v[6:7], v[24:25], v[66:67] op_sel:[0,0,1] op_sel_hi:[1,0,0] neg_lo:[1,0,0] neg_hi:[1,0,0]
	v_mov_b32_e32 v60, v61
	v_pk_mul_f32 v[72:73], v[12:13], v[44:45] op_sel_hi:[1,0]
	v_pk_mul_f32 v[74:75], v[8:9], v[74:75] op_sel_hi:[1,0]
	;; [unrolled: 1-line block ×3, first 2 shown]
	v_pk_mul_f32 v[82:83], v[4:5], v[38:39] op_sel:[0,1]
	v_mov_b32_e32 v15, v7
	v_pk_fma_f32 v[6:7], v[10:11], v[36:37], v[68:69] op_sel:[0,0,1] op_sel_hi:[1,1,0]
	v_pk_fma_f32 v[10:11], v[10:11], v[36:37], v[68:69] op_sel:[0,0,1] op_sel_hi:[1,0,0] neg_lo:[1,0,0] neg_hi:[1,0,0]
	v_pk_fma_f32 v[24:25], v[8:9], v[34:35], v[74:75] op_sel:[0,0,1] op_sel_hi:[1,1,0]
	v_mov_b32_e32 v7, v11
	v_pk_fma_f32 v[10:11], v[12:13], v[60:61], v[72:73] op_sel:[0,0,1] op_sel_hi:[1,1,0]
	v_pk_fma_f32 v[8:9], v[8:9], v[34:35], v[74:75] op_sel:[0,0,1] op_sel_hi:[1,0,0] neg_lo:[1,0,0] neg_hi:[1,0,0]
	v_pk_fma_f32 v[32:33], v[52:53], v[26:27], v[76:77] op_sel:[0,0,1] op_sel_hi:[1,1,0]
	v_pk_fma_f32 v[34:35], v[4:5], v[38:39], v[82:83] op_sel:[0,0,1] op_sel_hi:[1,1,0]
	v_mov_b32_e32 v70, v61
	v_pk_fma_f32 v[4:5], v[4:5], v[38:39], v[82:83] op_sel:[0,0,1] op_sel_hi:[1,0,0] neg_lo:[1,0,0] neg_hi:[1,0,0]
	v_mov_b32_e32 v36, v32
	v_mov_b32_e32 v37, v10
	v_mov_b32_e32 v38, v34
	v_mov_b32_e32 v39, v24
	v_lshlrev_b32_e32 v49, 3, v27
	v_pk_fma_f32 v[12:13], v[12:13], v[70:71], v[72:73] op_sel:[0,0,1] op_sel_hi:[1,0,0] neg_lo:[1,0,0] neg_hi:[1,0,0]
	v_pk_fma_f32 v[26:27], v[52:53], v[26:27], v[76:77] op_sel:[0,0,1] op_sel_hi:[1,0,0] neg_lo:[1,0,0] neg_hi:[1,0,0]
	v_pk_add_f32 v[44:45], v[36:37], v[38:39] neg_lo:[0,1] neg_hi:[0,1]
	v_mov_b32_e32 v12, v27
	v_mov_b32_e32 v4, v45
	;; [unrolled: 1-line block ×3, first 2 shown]
	v_pk_mul_f32 v[84:85], v[0:1], v[30:31] op_sel:[0,1]
	v_mov_b32_e32 v25, v9
	v_mov_b32_e32 v35, v5
	v_pk_add_f32 v[44:45], v[44:45], v[4:5]
	v_pk_add_f32 v[4:5], v[12:13], v[8:9] neg_lo:[0,1] neg_hi:[0,1]
	v_pk_add_f32 v[36:37], v[38:39], v[36:37] neg_lo:[0,1] neg_hi:[0,1]
	v_pk_add_f32 v[8:9], v[8:9], v[12:13] neg_lo:[0,1] neg_hi:[0,1]
	v_mov_b32_e32 v11, v13
	v_mov_b32_e32 v33, v27
	v_pk_fma_f32 v[60:61], v[0:1], v[30:31], v[84:85] op_sel:[0,0,1] op_sel_hi:[1,0,0]
	v_pk_fma_f32 v[0:1], v[0:1], v[30:31], v[84:85] op_sel:[0,0,1] op_sel_hi:[1,0,0] neg_lo:[1,0,0] neg_hi:[1,0,0]
	v_mov_b32_e32 v38, v37
	v_mov_b32_e32 v12, v9
	v_pk_add_f32 v[52:53], v[34:35], v[24:25]
	v_mov_b32_e32 v61, v1
	v_pk_add_f32 v[30:31], v[10:11], v[32:33] neg_lo:[0,1] neg_hi:[0,1]
	s_mov_b32 s2, 0x3e9e377a
	v_mov_b32_e32 v26, v5
	v_pk_add_f32 v[36:37], v[36:37], v[38:39]
	v_pk_add_f32 v[38:39], v[32:33], v[10:11]
	;; [unrolled: 1-line block ×3, first 2 shown]
	v_pk_add_f32 v[62:63], v[24:25], v[34:35] neg_lo:[0,1] neg_hi:[0,1]
	s_mov_b32 s3, 0x3f167918
	v_pk_add_f32 v[4:5], v[4:5], v[26:27]
	v_fma_f32 v27, -0.5, v53, v1
	v_fmac_f32_e32 v1, -0.5, v39
	v_mov_b32_e32 v9, v30
	v_pk_add_f32 v[10:11], v[10:11], v[60:61]
	v_fma_f32 v52, -0.5, v52, v60
	v_mov_b32_e32 v45, v63
	v_mov_b32_e32 v53, v60
	v_fmamk_f32 v12, v62, 0x3f737871, v1
	v_pk_mul_f32 v[8:9], v[8:9], s[2:3]
	v_fmac_f32_e32 v1, 0xbf737871, v62
	v_pk_add_f32 v[10:11], v[24:25], v[10:11]
	v_fmamk_f32 v0, v31, 0x3f737871, v52
	v_pk_mul_f32 v[44:45], v[44:45], s[2:3]
	v_mov_b32_e32 v5, v62
	v_mov_b32_e32 v37, v31
	v_fmac_f32_e32 v53, -0.5, v38
	v_sub_f32_e32 v12, v12, v9
	v_add_f32_e32 v1, v9, v1
	v_fmac_f32_e32 v52, 0xbf737871, v31
	v_pk_add_f32 v[10:11], v[34:35], v[10:11]
	s_mov_b32 s4, 0x3f737871
	v_add_f32_e32 v0, v45, v0
	v_fmamk_f32 v26, v30, 0xbf737871, v27
	v_pk_mul_f32 v[4:5], v[4:5], s[2:3]
	v_pk_mul_f32 v[36:37], v[36:37], s[2:3]
	v_fmamk_f32 v38, v63, 0xbf737871, v53
	v_add_f32_e32 v12, v8, v12
	v_fmac_f32_e32 v53, 0x3f737871, v63
	v_add_f32_e32 v8, v8, v1
	v_sub_f32_e32 v1, v52, v45
	v_fmac_f32_e32 v27, 0x3f737871, v30
	v_pk_add_f32 v[10:11], v[32:33], v[10:11]
	v_pk_add_f32 v[32:33], v[6:7], v[2:3]
	v_pk_add_f32 v[34:35], v[78:79], v[14:15] neg_lo:[0,1] neg_hi:[0,1]
	v_add_f32_e32 v0, v44, v0
	v_sub_f32_e32 v26, v26, v5
	v_sub_f32_e32 v13, v53, v37
	v_add_f32_e32 v44, v44, v1
	v_add_f32_e32 v1, v5, v27
	v_pk_fma_f32 v[32:33], v[32:33], 0.5, v[28:29] op_sel_hi:[1,0,1] neg_lo:[1,0,0] neg_hi:[1,0,0]
	v_pk_mul_f32 v[52:53], v[34:35], s[4:5] op_sel_hi:[1,0]
	v_pk_add_f32 v[60:61], v[2:3], v[6:7] neg_lo:[0,1] neg_hi:[0,1]
	s_mov_b32 s6, s3
	v_pk_add_f32 v[64:65], v[78:79], v[2:3] neg_lo:[0,1] neg_hi:[0,1]
	v_pk_add_f32 v[66:67], v[14:15], v[6:7] neg_lo:[0,1] neg_hi:[0,1]
	s_mov_b32 s10, 0x3f4f1bbd
	v_add_f32_e32 v26, v4, v26
	v_add_f32_e32 v4, v4, v1
	v_pk_add_f32 v[30:31], v[78:79], v[28:29]
	v_pk_mul_f32 v[62:63], v[60:61], s[6:7] op_sel_hi:[1,0]
	v_pk_add_f32 v[64:65], v[66:67], v[64:65]
	v_pk_add_f32 v[66:67], v[32:33], v[52:53] op_sel:[0,1] op_sel_hi:[1,0] neg_lo:[0,1] neg_hi:[0,1]
	v_pk_add_f32 v[32:33], v[32:33], v[52:53] op_sel:[0,1] op_sel_hi:[1,0]
	s_mov_b32 s20, s3
	s_mov_b32 s21, s10
	v_pk_add_f32 v[30:31], v[2:3], v[30:31]
	v_pk_add_f32 v[32:33], v[32:33], v[62:63] op_sel:[0,1] op_sel_hi:[1,0]
	v_pk_add_f32 v[52:53], v[66:67], v[62:63] op_sel:[0,1] op_sel_hi:[1,0] neg_lo:[0,1] neg_hi:[0,1]
	s_mov_b32 s11, s3
	v_pk_mul_f32 v[4:5], v[4:5], s[20:21] op_sel_hi:[0,1]
	v_pk_add_f32 v[30:31], v[6:7], v[30:31]
	v_mov_b32_e32 v62, v52
	v_mov_b32_e32 v63, v33
	v_pk_fma_f32 v[66:67], v[44:45], s[10:11], v[4:5] neg_lo:[0,0,1] neg_hi:[0,0,1]
	v_pk_fma_f32 v[4:5], v[44:45], s[10:11], v[4:5] op_sel_hi:[0,1,1]
	v_pk_add_f32 v[30:31], v[14:15], v[30:31]
	v_pk_fma_f32 v[62:63], v[64:65], s[2:3], v[62:63] op_sel_hi:[1,0,1]
	v_mov_b32_e32 v67, v5
	v_add_f32_e32 v38, v37, v38
	v_pk_add_f32 v[24:25], v[30:31], v[10:11]
	v_pk_add_f32 v[4:5], v[62:63], v[66:67]
	s_mov_b32 s5, s2
	v_add_f32_e32 v38, v36, v38
	v_add_f32_e32 v36, v36, v13
	ds_write2_b64 v49, v[24:25], v[4:5] offset1:16
	v_pk_add_f32 v[2:3], v[2:3], v[78:79] neg_lo:[0,1] neg_hi:[0,1]
	v_pk_add_f32 v[4:5], v[6:7], v[14:15] neg_lo:[0,1] neg_hi:[0,1]
	s_mov_b32 s10, s2
	s_mov_b32 s11, s4
	v_pk_mul_f32 v[6:7], v[8:9], s[4:5] op_sel_hi:[0,1]
	v_pk_add_f32 v[2:3], v[4:5], v[2:3]
	v_pk_add_f32 v[4:5], v[14:15], v[78:79]
	v_pk_fma_f32 v[8:9], v[36:37], s[10:11], v[6:7] neg_lo:[0,0,1] neg_hi:[0,0,1]
	v_pk_fma_f32 v[6:7], v[36:37], s[10:11], v[6:7] op_sel_hi:[0,1,1]
	v_pk_fma_f32 v[4:5], v[4:5], 0.5, v[28:29] op_sel_hi:[1,0,1] neg_lo:[1,0,0] neg_hi:[1,0,0]
	v_mov_b32_e32 v9, v7
	v_pk_mul_f32 v[6:7], v[60:61], s[4:5] op_sel_hi:[1,0]
	v_pk_mul_f32 v[14:15], v[34:35], s[6:7] op_sel_hi:[1,0]
	v_pk_add_f32 v[24:25], v[4:5], v[6:7] op_sel:[0,1] op_sel_hi:[1,0]
	v_pk_add_f32 v[4:5], v[4:5], v[6:7] op_sel:[0,1] op_sel_hi:[1,0] neg_lo:[0,1] neg_hi:[0,1]
	v_pk_add_f32 v[6:7], v[24:25], v[14:15] op_sel:[0,1] op_sel_hi:[1,0] neg_lo:[0,1] neg_hi:[0,1]
	v_pk_add_f32 v[4:5], v[4:5], v[14:15] op_sel:[0,1] op_sel_hi:[1,0]
	v_mov_b32_e32 v14, v6
	v_mov_b32_e32 v15, v5
	s_mov_b32 s6, 0xbe9e377a
	s_mov_b32 s7, s4
	v_pk_mul_f32 v[12:13], v[12:13], s[4:5] op_sel_hi:[0,1]
	v_mov_b32_e32 v5, v7
	v_pk_fma_f32 v[14:15], v[2:3], s[2:3], v[14:15] op_sel_hi:[1,0,1]
	v_pk_fma_f32 v[12:13], v[38:39], s[6:7], v[12:13] op_sel_hi:[0,1,1] neg_lo:[0,0,1] neg_hi:[0,0,1]
	v_pk_fma_f32 v[2:3], v[2:3], s[2:3], v[4:5] op_sel_hi:[1,0,1]
	v_pk_add_f32 v[24:25], v[14:15], v[8:9]
	v_pk_add_f32 v[4:5], v[2:3], v[12:13]
	ds_write2_b64 v49, v[24:25], v[4:5] offset0:32 offset1:48
	s_mov_b32 s4, 0xbf4f1bbd
	s_mov_b32 s5, s3
	v_pk_mul_f32 v[4:5], v[26:27], s[20:21] op_sel_hi:[0,1]
	v_mov_b32_e32 v33, v53
	v_pk_fma_f32 v[0:1], v[0:1], s[4:5], v[4:5] op_sel_hi:[0,1,1] neg_lo:[0,0,1] neg_hi:[0,0,1]
	v_pk_fma_f32 v[4:5], v[64:65], s[2:3], v[32:33] op_sel_hi:[1,0,1]
	v_pk_add_f32 v[10:11], v[30:31], v[10:11] neg_lo:[0,1] neg_hi:[0,1]
	v_pk_add_f32 v[6:7], v[4:5], v[0:1]
	ds_write2_b64 v49, v[6:7], v[10:11] offset0:64 offset1:80
	v_pk_add_f32 v[6:7], v[62:63], v[66:67] neg_lo:[0,1] neg_hi:[0,1]
	v_pk_add_f32 v[8:9], v[14:15], v[8:9] neg_lo:[0,1] neg_hi:[0,1]
	;; [unrolled: 1-line block ×4, first 2 shown]
	ds_write2_b64 v49, v[6:7], v[8:9] offset0:96 offset1:112
	ds_write2_b64 v49, v[2:3], v[0:1] offset0:128 offset1:144
.LBB0_25:
	s_or_b64 exec, exec, s[0:1]
	s_waitcnt lgkmcnt(0)
	s_barrier
	ds_read2_b64 v[2:5], v48 offset1:160
	v_add_u32_e32 v1, 0x800, v48
	ds_read2_b64 v[6:9], v1 offset0:64 offset1:224
	v_add_u32_e32 v0, 0x1400, v48
	ds_read2_b64 v[10:13], v0 offset1:160
	s_waitcnt lgkmcnt(2)
	v_pk_mul_f32 v[14:15], v[20:21], v[4:5]
	s_mov_b32 s2, 0x3f5db3d7
	v_pk_fma_f32 v[20:21], v[58:59], v[4:5], v[14:15] op_sel:[0,0,1] op_sel_hi:[1,1,0]
	v_pk_fma_f32 v[4:5], v[58:59], v[4:5], v[14:15] op_sel:[0,0,1] op_sel_hi:[1,1,0] neg_lo:[0,0,1] neg_hi:[0,0,1]
	s_waitcnt lgkmcnt(1)
	v_pk_mul_f32 v[14:15], v[22:23], v[6:7]
	v_mov_b32_e32 v21, v5
	v_pk_fma_f32 v[22:23], v[42:43], v[6:7], v[14:15] op_sel:[0,0,1] op_sel_hi:[1,1,0]
	v_pk_fma_f32 v[6:7], v[42:43], v[6:7], v[14:15] op_sel:[0,0,1] op_sel_hi:[1,1,0] neg_lo:[0,0,1] neg_hi:[0,0,1]
	v_mov_b32_e32 v4, v20
	v_mov_b32_e32 v23, v7
	v_pk_mul_f32 v[6:7], v[16:17], v[8:9]
	s_mov_b32 s4, 0.5
	v_pk_fma_f32 v[14:15], v[56:57], v[8:9], v[6:7] op_sel:[0,0,1] op_sel_hi:[1,1,0]
	v_pk_fma_f32 v[6:7], v[56:57], v[8:9], v[6:7] op_sel:[0,0,1] op_sel_hi:[1,1,0] neg_lo:[0,0,1] neg_hi:[0,0,1]
	s_mov_b32 s5, s2
	v_mov_b32_e32 v15, v7
	s_waitcnt lgkmcnt(0)
	v_pk_mul_f32 v[6:7], v[18:19], v[10:11]
	s_mov_b32 s0, -0.5
	v_pk_fma_f32 v[8:9], v[40:41], v[10:11], v[6:7] op_sel:[0,0,1] op_sel_hi:[1,1,0]
	v_pk_fma_f32 v[6:7], v[40:41], v[10:11], v[6:7] op_sel:[0,0,1] op_sel_hi:[1,1,0] neg_lo:[0,0,1] neg_hi:[0,0,1]
	s_mov_b32 s1, s2
	v_mov_b32_e32 v9, v7
	v_pk_mul_f32 v[6:7], v[54:55], v[12:13]
	v_pk_add_f32 v[18:19], v[22:23], v[8:9]
	v_pk_fma_f32 v[10:11], v[46:47], v[12:13], v[6:7] op_sel:[0,0,1] op_sel_hi:[1,1,0]
	v_pk_fma_f32 v[6:7], v[46:47], v[12:13], v[6:7] op_sel:[0,0,1] op_sel_hi:[1,1,0] neg_lo:[0,0,1] neg_hi:[0,0,1]
	s_nop 0
	v_mov_b32_e32 v11, v7
	v_pk_add_f32 v[6:7], v[2:3], v[22:23]
	v_pk_add_f32 v[12:13], v[14:15], v[10:11]
	v_pk_add_f32 v[6:7], v[6:7], v[8:9]
	v_pk_add_f32 v[16:17], v[14:15], v[10:11] neg_lo:[0,1] neg_hi:[0,1]
	v_pk_add_f32 v[14:15], v[20:21], v[14:15]
	v_fmac_f32_e32 v5, -0.5, v13
	v_pk_add_f32 v[8:9], v[22:23], v[8:9] neg_lo:[0,1] neg_hi:[0,1]
	v_fmac_f32_e32 v4, -0.5, v12
	v_pk_add_f32 v[10:11], v[14:15], v[10:11]
	v_fmamk_f32 v14, v16, 0x3f5db3d7, v5
	v_pk_mul_f32 v[8:9], v[8:9], s[2:3] op_sel_hi:[1,0]
	s_mov_b32 s3, s4
	v_fmamk_f32 v12, v17, 0xbf5db3d7, v4
	v_pk_fma_f32 v[2:3], -0.5, v[18:19], v[2:3] op_sel_hi:[0,1,1]
	v_pk_mul_f32 v[14:15], v[14:15], s[2:3] op_sel_hi:[0,1]
	v_pk_add_f32 v[18:19], v[2:3], v[8:9] op_sel:[0,1] op_sel_hi:[1,0] neg_lo:[0,1] neg_hi:[0,1]
	v_pk_add_f32 v[2:3], v[2:3], v[8:9] op_sel:[0,1] op_sel_hi:[1,0]
	v_pk_fma_f32 v[20:21], v[12:13], s[4:5], v[14:15] neg_lo:[0,0,1] neg_hi:[0,0,1]
	v_pk_fma_f32 v[12:13], v[12:13], s[4:5], v[14:15] op_sel_hi:[0,1,1]
	v_mov_b32_e32 v8, v18
	v_mov_b32_e32 v9, v3
	;; [unrolled: 1-line block ×3, first 2 shown]
	v_fmac_f32_e32 v4, 0x3f5db3d7, v17
	v_fmac_f32_e32 v5, 0xbf5db3d7, v16
	v_pk_add_f32 v[16:17], v[6:7], v[10:11]
	v_pk_add_f32 v[12:13], v[8:9], v[20:21]
	ds_write2_b64 v48, v[16:17], v[12:13] offset1:160
	v_mov_b32_e32 v12, v5
	v_pk_mul_f32 v[12:13], v[12:13], s[2:3] op_sel_hi:[0,1]
	v_pk_fma_f32 v[4:5], v[4:5], s[0:1], v[12:13] op_sel_hi:[0,1,1] neg_lo:[0,0,1] neg_hi:[0,0,1]
	v_mov_b32_e32 v3, v19
	v_pk_add_f32 v[12:13], v[2:3], v[4:5]
	v_pk_add_f32 v[6:7], v[6:7], v[10:11] neg_lo:[0,1] neg_hi:[0,1]
	ds_write2_b64 v1, v[12:13], v[6:7] offset0:64 offset1:224
	v_pk_add_f32 v[6:7], v[8:9], v[20:21] neg_lo:[0,1] neg_hi:[0,1]
	v_pk_add_f32 v[2:3], v[2:3], v[4:5] neg_lo:[0,1] neg_hi:[0,1]
	ds_write2_b64 v0, v[6:7], v[2:3] offset1:160
	s_waitcnt lgkmcnt(0)
	s_barrier
	s_and_b64 exec, exec, s[8:9]
	s_cbranch_execz .LBB0_27
; %bb.26:
	global_load_dwordx2 v[10:11], v48, s[16:17]
	global_load_dwordx2 v[12:13], v48, s[16:17] offset:480
	global_load_dwordx2 v[14:15], v48, s[16:17] offset:960
	;; [unrolled: 1-line block ×5, first 2 shown]
	ds_read_b64 v[22:23], v48
	ds_read_b64 v[30:31], v48 offset:3840
	ds_read2_b64 v[2:5], v48 offset0:60 offset1:120
	ds_read2_b64 v[6:9], v48 offset0:180 offset1:240
	global_load_dwordx2 v[32:33], v48, s[16:17] offset:2880
	global_load_dwordx2 v[34:35], v48, s[16:17] offset:3360
	;; [unrolled: 1-line block ×3, first 2 shown]
	v_mad_u64_u32 v[20:21], s[0:1], s14, v50, 0
	v_mad_u64_u32 v[24:25], s[2:3], s12, v51, 0
	v_mov_b32_e32 v38, v21
	v_mov_b32_e32 v42, v25
	v_mad_u64_u32 v[38:39], s[4:5], s15, v50, v[38:39]
	v_mov_b32_e32 v18, s18
	v_mov_b32_e32 v19, s19
	;; [unrolled: 3-line block ×3, first 2 shown]
	v_lshl_add_u64 v[18:19], v[20:21], 3, v[18:19]
	s_mov_b32 s0, 0x11111111
	v_mov_b32_e32 v44, 0x1e0
	v_lshl_add_u64 v[18:19], v[24:25], 3, v[18:19]
	s_mov_b32 s1, 0x3f511111
	s_mul_i32 s2, s13, 0x1e0
	v_mad_u64_u32 v[20:21], s[4:5], s12, v44, v[18:19]
	v_mov_b32_e32 v49, 0
	v_add_u32_e32 v21, s2, v21
	s_movk_i32 s3, 0x1000
	v_lshl_add_u64 v[40:41], s[16:17], 0, v[48:49]
	v_mad_u64_u32 v[24:25], s[4:5], s12, v44, v[20:21]
	v_add_u32_e32 v25, s2, v25
	s_waitcnt vmcnt(8) lgkmcnt(3)
	v_mul_f32_e32 v38, v23, v11
	v_mul_f32_e32 v11, v22, v11
	s_waitcnt vmcnt(7) lgkmcnt(1)
	v_mul_f32_e32 v39, v3, v13
	s_waitcnt vmcnt(6)
	v_mul_f32_e32 v42, v5, v15
	v_mul_f32_e32 v13, v2, v13
	;; [unrolled: 1-line block ×3, first 2 shown]
	s_waitcnt vmcnt(5) lgkmcnt(0)
	v_mul_f32_e32 v43, v7, v17
	v_mul_f32_e32 v17, v6, v17
	v_fmac_f32_e32 v38, v22, v10
	v_fma_f32 v10, v10, v23, -v11
	v_fmac_f32_e32 v39, v2, v12
	v_fmac_f32_e32 v42, v4, v14
	v_fma_f32 v11, v12, v3, -v13
	v_fma_f32 v14, v14, v5, -v15
	v_fmac_f32_e32 v43, v6, v16
	v_fma_f32 v22, v16, v7, -v17
	v_cvt_f64_f32_e32 v[2:3], v38
	v_cvt_f64_f32_e32 v[4:5], v10
	;; [unrolled: 1-line block ×6, first 2 shown]
	v_mul_f64 v[2:3], v[2:3], s[0:1]
	v_mul_f64 v[4:5], v[4:5], s[0:1]
	;; [unrolled: 1-line block ×6, first 2 shown]
	v_cvt_f32_f64_e32 v2, v[2:3]
	v_cvt_f32_f64_e32 v3, v[4:5]
	;; [unrolled: 1-line block ×6, first 2 shown]
	global_store_dwordx2 v[18:19], v[2:3], off
	global_store_dwordx2 v[20:21], v[4:5], off
	;; [unrolled: 1-line block ×3, first 2 shown]
	v_add_co_u32_e32 v6, vcc, s3, v40
	s_waitcnt vmcnt(7)
	v_mul_f32_e32 v2, v9, v27
	v_addc_co_u32_e32 v7, vcc, 0, v41, vcc
	global_load_dwordx2 v[12:13], v[6:7], off offset:224
	v_cvt_f64_f32_e32 v[16:17], v43
	v_cvt_f64_f32_e32 v[22:23], v22
	v_fmac_f32_e32 v2, v8, v26
	v_mul_f64 v[16:17], v[16:17], s[0:1]
	v_mul_f64 v[22:23], v[22:23], s[0:1]
	v_mad_u64_u32 v[14:15], s[4:5], s12, v44, v[24:25]
	v_cvt_f64_f32_e32 v[2:3], v2
	v_cvt_f32_f64_e32 v10, v[16:17]
	v_cvt_f32_f64_e32 v11, v[22:23]
	v_add_u32_e32 v15, s2, v15
	v_mul_f64 v[2:3], v[2:3], s[0:1]
	global_store_dwordx2 v[14:15], v[10:11], off
	v_cvt_f32_f64_e32 v10, v[2:3]
	v_mul_f32_e32 v2, v8, v27
	v_fma_f32 v2, v26, v9, -v2
	global_load_dwordx2 v[8:9], v[6:7], off offset:704
	global_load_dwordx2 v[16:17], v[6:7], off offset:1184
	v_cvt_f64_f32_e32 v[2:3], v2
	v_mul_f64 v[2:3], v[2:3], s[0:1]
	v_cvt_f32_f64_e32 v11, v[2:3]
	ds_read2_b64 v[2:5], v1 offset0:44 offset1:104
	v_mad_u64_u32 v[14:15], s[4:5], s12, v44, v[14:15]
	v_add_u32_e32 v15, s2, v15
	global_store_dwordx2 v[14:15], v[10:11], off
	s_waitcnt vmcnt(11) lgkmcnt(0)
	v_mul_f32_e32 v1, v3, v29
	v_fmac_f32_e32 v1, v2, v28
	v_cvt_f64_f32_e32 v[10:11], v1
	v_mul_f32_e32 v1, v2, v29
	v_fma_f32 v1, v28, v3, -v1
	v_cvt_f64_f32_e32 v[2:3], v1
	s_waitcnt vmcnt(10)
	v_mul_f32_e32 v1, v5, v33
	v_mul_f64 v[10:11], v[10:11], s[0:1]
	v_mul_f64 v[2:3], v[2:3], s[0:1]
	v_fmac_f32_e32 v1, v4, v32
	v_cvt_f32_f64_e32 v10, v[10:11]
	v_cvt_f32_f64_e32 v11, v[2:3]
	v_mad_u64_u32 v[14:15], s[4:5], s12, v44, v[14:15]
	v_cvt_f64_f32_e32 v[2:3], v1
	v_mul_f32_e32 v1, v4, v33
	v_add_u32_e32 v15, s2, v15
	v_mul_f64 v[2:3], v[2:3], s[0:1]
	v_fma_f32 v1, v32, v5, -v1
	global_store_dwordx2 v[14:15], v[10:11], off
	v_cvt_f32_f64_e32 v10, v[2:3]
	v_cvt_f64_f32_e32 v[2:3], v1
	v_mul_f64 v[2:3], v[2:3], s[0:1]
	v_add_u32_e32 v1, 0xc00, v48
	v_cvt_f32_f64_e32 v11, v[2:3]
	ds_read2_b64 v[2:5], v1 offset0:36 offset1:156
	v_mad_u64_u32 v[14:15], s[4:5], s12, v44, v[14:15]
	v_add_u32_e32 v15, s2, v15
	global_store_dwordx2 v[14:15], v[10:11], off
	s_waitcnt vmcnt(11) lgkmcnt(0)
	v_mul_f32_e32 v1, v3, v35
	v_fmac_f32_e32 v1, v2, v34
	v_cvt_f64_f32_e32 v[10:11], v1
	v_mul_f32_e32 v1, v2, v35
	v_fma_f32 v1, v34, v3, -v1
	v_cvt_f64_f32_e32 v[2:3], v1
	v_mul_f64 v[10:11], v[10:11], s[0:1]
	v_mul_f64 v[2:3], v[2:3], s[0:1]
	v_cvt_f32_f64_e32 v10, v[10:11]
	v_cvt_f32_f64_e32 v11, v[2:3]
	v_mad_u64_u32 v[2:3], s[4:5], s12, v44, v[14:15]
	s_waitcnt vmcnt(10)
	v_mul_f32_e32 v1, v31, v37
	v_add_u32_e32 v3, s2, v3
	v_fmac_f32_e32 v1, v30, v36
	global_store_dwordx2 v[2:3], v[10:11], off
	v_cvt_f64_f32_e32 v[10:11], v1
	v_mul_f32_e32 v1, v30, v37
	v_fma_f32 v1, v36, v31, -v1
	v_cvt_f64_f32_e32 v[14:15], v1
	v_mul_f64 v[10:11], v[10:11], s[0:1]
	v_mul_f64 v[14:15], v[14:15], s[0:1]
	v_cvt_f32_f64_e32 v10, v[10:11]
	s_waitcnt vmcnt(7)
	v_mul_f32_e32 v1, v5, v13
	v_fmac_f32_e32 v1, v4, v12
	v_cvt_f32_f64_e32 v11, v[14:15]
	v_mad_u64_u32 v[14:15], s[4:5], s12, v44, v[2:3]
	v_cvt_f64_f32_e32 v[2:3], v1
	v_mul_f32_e32 v1, v4, v13
	v_add_u32_e32 v15, s2, v15
	v_mul_f64 v[2:3], v[2:3], s[0:1]
	v_fma_f32 v1, v12, v5, -v1
	global_store_dwordx2 v[14:15], v[10:11], off
	v_cvt_f32_f64_e32 v10, v[2:3]
	v_cvt_f64_f32_e32 v[2:3], v1
	v_mul_f64 v[2:3], v[2:3], s[0:1]
	v_add_u32_e32 v1, 0x1000, v48
	v_cvt_f32_f64_e32 v11, v[2:3]
	ds_read2_b64 v[2:5], v1 offset0:88 offset1:148
	v_mad_u64_u32 v[12:13], s[4:5], s12, v44, v[14:15]
	v_add_u32_e32 v13, s2, v13
	global_store_dwordx2 v[12:13], v[10:11], off
	s_waitcnt vmcnt(7) lgkmcnt(0)
	v_mul_f32_e32 v1, v3, v9
	v_fmac_f32_e32 v1, v2, v8
	v_cvt_f64_f32_e32 v[10:11], v1
	v_mul_f32_e32 v1, v2, v9
	v_fma_f32 v1, v8, v3, -v1
	v_cvt_f64_f32_e32 v[2:3], v1
	s_waitcnt vmcnt(6)
	v_mul_f32_e32 v1, v5, v17
	v_fmac_f32_e32 v1, v4, v16
	v_cvt_f64_f32_e32 v[8:9], v1
	v_mul_f32_e32 v1, v4, v17
	v_mul_f64 v[10:11], v[10:11], s[0:1]
	v_mul_f64 v[2:3], v[2:3], s[0:1]
	v_fma_f32 v1, v16, v5, -v1
	v_cvt_f32_f64_e32 v10, v[10:11]
	v_cvt_f32_f64_e32 v11, v[2:3]
	v_mad_u64_u32 v[2:3], s[4:5], s12, v44, v[12:13]
	v_cvt_f64_f32_e32 v[4:5], v1
	v_add_u32_e32 v3, s2, v3
	v_mul_f64 v[8:9], v[8:9], s[0:1]
	v_mul_f64 v[4:5], v[4:5], s[0:1]
	v_cvt_f32_f64_e32 v8, v[8:9]
	v_cvt_f32_f64_e32 v9, v[4:5]
	v_mad_u64_u32 v[4:5], s[4:5], s12, v44, v[2:3]
	v_add_u32_e32 v5, s2, v5
	global_store_dwordx2 v[2:3], v[10:11], off
	global_store_dwordx2 v[4:5], v[8:9], off
	global_load_dwordx2 v[8:9], v[6:7], off offset:1664
	ds_read2_b64 v[0:3], v0 offset0:80 offset1:140
	s_waitcnt vmcnt(0) lgkmcnt(0)
	v_mul_f32_e32 v10, v1, v9
	v_fmac_f32_e32 v10, v0, v8
	v_mul_f32_e32 v0, v0, v9
	v_fma_f32 v0, v8, v1, -v0
	v_cvt_f64_f32_e32 v[10:11], v10
	v_cvt_f64_f32_e32 v[0:1], v0
	v_mul_f64 v[10:11], v[10:11], s[0:1]
	v_mul_f64 v[0:1], v[0:1], s[0:1]
	v_cvt_f32_f64_e32 v10, v[10:11]
	v_cvt_f32_f64_e32 v11, v[0:1]
	v_mad_u64_u32 v[0:1], s[4:5], s12, v44, v[4:5]
	v_add_u32_e32 v1, s2, v1
	global_store_dwordx2 v[0:1], v[10:11], off
	global_load_dwordx2 v[4:5], v[6:7], off offset:2144
	v_mad_u64_u32 v[8:9], s[4:5], s12, v44, v[0:1]
	v_add_u32_e32 v9, s2, v9
	s_waitcnt vmcnt(0)
	v_mul_f32_e32 v0, v3, v5
	v_mul_f32_e32 v1, v2, v5
	v_fmac_f32_e32 v0, v2, v4
	v_fma_f32 v2, v4, v3, -v1
	v_cvt_f64_f32_e32 v[0:1], v0
	v_cvt_f64_f32_e32 v[2:3], v2
	v_mul_f64 v[0:1], v[0:1], s[0:1]
	v_mul_f64 v[2:3], v[2:3], s[0:1]
	v_cvt_f32_f64_e32 v0, v[0:1]
	v_cvt_f32_f64_e32 v1, v[2:3]
	global_store_dwordx2 v[8:9], v[0:1], off
	global_load_dwordx2 v[4:5], v[6:7], off offset:2624
	v_add_u32_e32 v0, 0x1800, v48
	ds_read2_b64 v[0:3], v0 offset0:72 offset1:132
	v_mad_u64_u32 v[8:9], s[4:5], s12, v44, v[8:9]
	v_add_u32_e32 v9, s2, v9
	s_waitcnt vmcnt(0) lgkmcnt(0)
	v_mul_f32_e32 v10, v1, v5
	v_mul_f32_e32 v5, v0, v5
	v_fmac_f32_e32 v10, v0, v4
	v_fma_f32 v4, v4, v1, -v5
	v_cvt_f64_f32_e32 v[0:1], v10
	v_cvt_f64_f32_e32 v[4:5], v4
	v_mul_f64 v[0:1], v[0:1], s[0:1]
	v_mul_f64 v[4:5], v[4:5], s[0:1]
	v_cvt_f32_f64_e32 v0, v[0:1]
	v_cvt_f32_f64_e32 v1, v[4:5]
	global_store_dwordx2 v[8:9], v[0:1], off
	global_load_dwordx2 v[0:1], v[6:7], off offset:3104
	v_mad_u64_u32 v[4:5], s[4:5], s12, v44, v[8:9]
	v_add_u32_e32 v5, s2, v5
	s_waitcnt vmcnt(0)
	v_mul_f32_e32 v6, v3, v1
	v_mul_f32_e32 v1, v2, v1
	v_fmac_f32_e32 v6, v2, v0
	v_fma_f32 v2, v0, v3, -v1
	v_cvt_f64_f32_e32 v[0:1], v6
	v_cvt_f64_f32_e32 v[2:3], v2
	v_mul_f64 v[0:1], v[0:1], s[0:1]
	v_mul_f64 v[2:3], v[2:3], s[0:1]
	v_cvt_f32_f64_e32 v0, v[0:1]
	v_cvt_f32_f64_e32 v1, v[2:3]
	global_store_dwordx2 v[4:5], v[0:1], off
.LBB0_27:
	s_endpgm
	.section	.rodata,"a",@progbits
	.p2align	6, 0x0
	.amdhsa_kernel bluestein_single_back_len960_dim1_sp_op_CI_CI
		.amdhsa_group_segment_fixed_size 7680
		.amdhsa_private_segment_fixed_size 0
		.amdhsa_kernarg_size 104
		.amdhsa_user_sgpr_count 2
		.amdhsa_user_sgpr_dispatch_ptr 0
		.amdhsa_user_sgpr_queue_ptr 0
		.amdhsa_user_sgpr_kernarg_segment_ptr 1
		.amdhsa_user_sgpr_dispatch_id 0
		.amdhsa_user_sgpr_kernarg_preload_length 0
		.amdhsa_user_sgpr_kernarg_preload_offset 0
		.amdhsa_user_sgpr_private_segment_size 0
		.amdhsa_uses_dynamic_stack 0
		.amdhsa_enable_private_segment 0
		.amdhsa_system_sgpr_workgroup_id_x 1
		.amdhsa_system_sgpr_workgroup_id_y 0
		.amdhsa_system_sgpr_workgroup_id_z 0
		.amdhsa_system_sgpr_workgroup_info 0
		.amdhsa_system_vgpr_workitem_id 0
		.amdhsa_next_free_vgpr 117
		.amdhsa_next_free_sgpr 26
		.amdhsa_accum_offset 120
		.amdhsa_reserve_vcc 1
		.amdhsa_float_round_mode_32 0
		.amdhsa_float_round_mode_16_64 0
		.amdhsa_float_denorm_mode_32 3
		.amdhsa_float_denorm_mode_16_64 3
		.amdhsa_dx10_clamp 1
		.amdhsa_ieee_mode 1
		.amdhsa_fp16_overflow 0
		.amdhsa_tg_split 0
		.amdhsa_exception_fp_ieee_invalid_op 0
		.amdhsa_exception_fp_denorm_src 0
		.amdhsa_exception_fp_ieee_div_zero 0
		.amdhsa_exception_fp_ieee_overflow 0
		.amdhsa_exception_fp_ieee_underflow 0
		.amdhsa_exception_fp_ieee_inexact 0
		.amdhsa_exception_int_div_zero 0
	.end_amdhsa_kernel
	.text
.Lfunc_end0:
	.size	bluestein_single_back_len960_dim1_sp_op_CI_CI, .Lfunc_end0-bluestein_single_back_len960_dim1_sp_op_CI_CI
                                        ; -- End function
	.section	.AMDGPU.csdata,"",@progbits
; Kernel info:
; codeLenInByte = 10248
; NumSgprs: 32
; NumVgprs: 117
; NumAgprs: 0
; TotalNumVgprs: 117
; ScratchSize: 0
; MemoryBound: 0
; FloatMode: 240
; IeeeMode: 1
; LDSByteSize: 7680 bytes/workgroup (compile time only)
; SGPRBlocks: 3
; VGPRBlocks: 14
; NumSGPRsForWavesPerEU: 32
; NumVGPRsForWavesPerEU: 117
; AccumOffset: 120
; Occupancy: 4
; WaveLimiterHint : 1
; COMPUTE_PGM_RSRC2:SCRATCH_EN: 0
; COMPUTE_PGM_RSRC2:USER_SGPR: 2
; COMPUTE_PGM_RSRC2:TRAP_HANDLER: 0
; COMPUTE_PGM_RSRC2:TGID_X_EN: 1
; COMPUTE_PGM_RSRC2:TGID_Y_EN: 0
; COMPUTE_PGM_RSRC2:TGID_Z_EN: 0
; COMPUTE_PGM_RSRC2:TIDIG_COMP_CNT: 0
; COMPUTE_PGM_RSRC3_GFX90A:ACCUM_OFFSET: 29
; COMPUTE_PGM_RSRC3_GFX90A:TG_SPLIT: 0
	.text
	.p2alignl 6, 3212836864
	.fill 256, 4, 3212836864
	.type	__hip_cuid_5c4132303212f85f,@object ; @__hip_cuid_5c4132303212f85f
	.section	.bss,"aw",@nobits
	.globl	__hip_cuid_5c4132303212f85f
__hip_cuid_5c4132303212f85f:
	.byte	0                               ; 0x0
	.size	__hip_cuid_5c4132303212f85f, 1

	.ident	"AMD clang version 19.0.0git (https://github.com/RadeonOpenCompute/llvm-project roc-6.4.0 25133 c7fe45cf4b819c5991fe208aaa96edf142730f1d)"
	.section	".note.GNU-stack","",@progbits
	.addrsig
	.addrsig_sym __hip_cuid_5c4132303212f85f
	.amdgpu_metadata
---
amdhsa.kernels:
  - .agpr_count:     0
    .args:
      - .actual_access:  read_only
        .address_space:  global
        .offset:         0
        .size:           8
        .value_kind:     global_buffer
      - .actual_access:  read_only
        .address_space:  global
        .offset:         8
        .size:           8
        .value_kind:     global_buffer
      - .actual_access:  read_only
        .address_space:  global
        .offset:         16
        .size:           8
        .value_kind:     global_buffer
      - .actual_access:  read_only
        .address_space:  global
        .offset:         24
        .size:           8
        .value_kind:     global_buffer
      - .actual_access:  read_only
        .address_space:  global
        .offset:         32
        .size:           8
        .value_kind:     global_buffer
      - .offset:         40
        .size:           8
        .value_kind:     by_value
      - .address_space:  global
        .offset:         48
        .size:           8
        .value_kind:     global_buffer
      - .address_space:  global
        .offset:         56
        .size:           8
        .value_kind:     global_buffer
      - .address_space:  global
        .offset:         64
        .size:           8
        .value_kind:     global_buffer
      - .address_space:  global
        .offset:         72
        .size:           8
        .value_kind:     global_buffer
      - .offset:         80
        .size:           4
        .value_kind:     by_value
      - .address_space:  global
        .offset:         88
        .size:           8
        .value_kind:     global_buffer
      - .address_space:  global
        .offset:         96
        .size:           8
        .value_kind:     global_buffer
    .group_segment_fixed_size: 7680
    .kernarg_segment_align: 8
    .kernarg_segment_size: 104
    .language:       OpenCL C
    .language_version:
      - 2
      - 0
    .max_flat_workgroup_size: 160
    .name:           bluestein_single_back_len960_dim1_sp_op_CI_CI
    .private_segment_fixed_size: 0
    .sgpr_count:     32
    .sgpr_spill_count: 0
    .symbol:         bluestein_single_back_len960_dim1_sp_op_CI_CI.kd
    .uniform_work_group_size: 1
    .uses_dynamic_stack: false
    .vgpr_count:     117
    .vgpr_spill_count: 0
    .wavefront_size: 64
amdhsa.target:   amdgcn-amd-amdhsa--gfx950
amdhsa.version:
  - 1
  - 2
...

	.end_amdgpu_metadata
